;; amdgpu-corpus repo=zjin-lcf/HeCBench kind=compiled arch=gfx906 opt=O3
	.amdgcn_target "amdgcn-amd-amdhsa--gfx906"
	.amdhsa_code_object_version 6
	.text
	.protected	_Z21gpu_apply_hamiltonianidPKiS0_PKdS2_S2_S2_S2_PdS3_ ; -- Begin function _Z21gpu_apply_hamiltonianidPKiS0_PKdS2_S2_S2_S2_PdS3_
	.globl	_Z21gpu_apply_hamiltonianidPKiS0_PKdS2_S2_S2_S2_PdS3_
	.p2align	8
	.type	_Z21gpu_apply_hamiltonianidPKiS0_PKdS2_S2_S2_S2_PdS3_,@function
_Z21gpu_apply_hamiltonianidPKiS0_PKdS2_S2_S2_S2_PdS3_: ; @_Z21gpu_apply_hamiltonianidPKiS0_PKdS2_S2_S2_S2_PdS3_
; %bb.0:
	s_load_dword s0, s[4:5], 0x64
	s_load_dword s20, s[4:5], 0x0
	s_waitcnt lgkmcnt(0)
	s_and_b32 s0, s0, 0xffff
	s_mul_i32 s6, s6, s0
	v_add_u32_e32 v4, s6, v0
	v_cmp_gt_i32_e32 vcc, s20, v4
	s_and_saveexec_b64 s[0:1], vcc
	s_cbranch_execz .LBB0_6
; %bb.1:
	s_load_dwordx2 s[0:1], s[4:5], 0x20
	s_load_dwordx2 s[2:3], s[4:5], 0x10
	s_load_dwordx8 s[8:15], s[4:5], 0x38
	v_ashrrev_i32_e32 v5, 31, v4
	v_lshlrev_b64 v[0:1], 3, v[4:5]
	s_waitcnt lgkmcnt(0)
	v_mov_b32_e32 v3, s1
	v_add_co_u32_e32 v2, vcc, s0, v0
	v_addc_co_u32_e32 v3, vcc, v3, v1, vcc
	v_mov_b32_e32 v7, s9
	v_add_co_u32_e32 v6, vcc, s8, v0
	v_addc_co_u32_e32 v7, vcc, v7, v1, vcc
	;; [unrolled: 3-line block ×3, first 2 shown]
	global_load_dwordx2 v[2:3], v[2:3], off
	v_lshlrev_b64 v[11:12], 2, v[4:5]
	global_load_dwordx2 v[6:7], v[6:7], off
	v_mov_b32_e32 v5, s3
	global_load_dwordx2 v[9:10], v[8:9], off
	v_add_co_u32_e32 v11, vcc, s2, v11
	v_addc_co_u32_e32 v12, vcc, v5, v12, vcc
	global_load_dword v8, v[11:12], off
	s_waitcnt vmcnt(2)
	v_mul_f64 v[6:7], v[2:3], v[6:7]
	s_waitcnt vmcnt(1)
	v_mul_f64 v[2:3], v[2:3], v[9:10]
	s_waitcnt vmcnt(0)
	v_cmp_lt_i32_e32 vcc, 0, v8
	s_and_saveexec_b64 s[6:7], vcc
	s_cbranch_execz .LBB0_5
; %bb.2:
	s_load_dwordx2 s[16:17], s[4:5], 0x18
	s_load_dwordx4 s[0:3], s[4:5], 0x28
	s_mov_b64 s[18:19], 0
	v_mov_b32_e32 v12, s9
	v_mov_b32_e32 v13, s11
	s_waitcnt lgkmcnt(0)
	v_mov_b32_e32 v9, s17
	v_mov_b32_e32 v10, s1
	;; [unrolled: 1-line block ×3, first 2 shown]
.LBB0_3:                                ; =>This Inner Loop Header: Depth=1
	v_ashrrev_i32_e32 v5, 31, v4
	v_lshlrev_b64 v[14:15], 2, v[4:5]
	v_add_u32_e32 v8, -1, v8
	v_add_co_u32_e32 v14, vcc, s16, v14
	v_addc_co_u32_e32 v15, vcc, v9, v15, vcc
	global_load_dword v14, v[14:15], off
	v_lshlrev_b64 v[15:16], 3, v[4:5]
	v_add_u32_e32 v4, s20, v4
	v_add_co_u32_e32 v17, vcc, s0, v15
	v_addc_co_u32_e32 v18, vcc, v10, v16, vcc
	v_add_co_u32_e32 v15, vcc, s2, v15
	v_addc_co_u32_e32 v16, vcc, v11, v16, vcc
	global_load_dwordx2 v[19:20], v[15:16], off
	s_waitcnt vmcnt(1)
	v_ashrrev_i32_e32 v15, 31, v14
	v_lshlrev_b64 v[14:15], 3, v[14:15]
	v_add_co_u32_e32 v21, vcc, s10, v14
	v_addc_co_u32_e32 v22, vcc, v13, v15, vcc
	global_load_dwordx2 v[23:24], v[21:22], off
	global_load_dwordx2 v[25:26], v[17:18], off
	v_add_co_u32_e32 v14, vcc, s8, v14
	v_addc_co_u32_e32 v15, vcc, v12, v15, vcc
	global_load_dwordx2 v[14:15], v[14:15], off
	v_cmp_eq_u32_e32 vcc, 0, v8
	s_or_b64 s[18:19], vcc, s[18:19]
	s_waitcnt vmcnt(2)
	v_mul_f64 v[16:17], v[19:20], v[23:24]
	s_waitcnt vmcnt(1)
	v_mul_f64 v[21:22], v[25:26], v[23:24]
	s_waitcnt vmcnt(0)
	v_fma_f64 v[16:17], v[25:26], v[14:15], -v[16:17]
	v_fma_f64 v[14:15], v[19:20], v[14:15], v[21:22]
	v_add_f64 v[6:7], v[6:7], v[16:17]
	v_add_f64 v[2:3], v[2:3], v[14:15]
	s_andn2_b64 exec, exec, s[18:19]
	s_cbranch_execnz .LBB0_3
; %bb.4:
	s_or_b64 exec, exec, s[18:19]
.LBB0_5:
	s_or_b64 exec, exec, s[6:7]
	s_load_dwordx2 s[2:3], s[4:5], 0x8
	s_waitcnt lgkmcnt(0)
	v_div_scale_f64 v[4:5], s[0:1], s[2:3], s[2:3], v[6:7]
	v_div_scale_f64 v[8:9], s[0:1], s[2:3], s[2:3], v[2:3]
	;; [unrolled: 1-line block ×3, first 2 shown]
	v_rcp_f64_e32 v[10:11], v[4:5]
	v_rcp_f64_e32 v[12:13], v[8:9]
	v_fma_f64 v[14:15], -v[4:5], v[10:11], 1.0
	v_fma_f64 v[16:17], -v[8:9], v[12:13], 1.0
	v_fma_f64 v[10:11], v[10:11], v[14:15], v[10:11]
	v_div_scale_f64 v[14:15], vcc, v[6:7], s[2:3], v[6:7]
	v_fma_f64 v[12:13], v[12:13], v[16:17], v[12:13]
	v_fma_f64 v[16:17], -v[4:5], v[10:11], 1.0
	v_fma_f64 v[20:21], -v[8:9], v[12:13], 1.0
	v_fma_f64 v[10:11], v[10:11], v[16:17], v[10:11]
	v_fma_f64 v[12:13], v[12:13], v[20:21], v[12:13]
	v_mul_f64 v[16:17], v[14:15], v[10:11]
	v_mul_f64 v[20:21], v[18:19], v[12:13]
	v_fma_f64 v[4:5], -v[4:5], v[16:17], v[14:15]
	v_fma_f64 v[8:9], -v[8:9], v[20:21], v[18:19]
	v_div_fmas_f64 v[4:5], v[4:5], v[10:11], v[16:17]
	s_mov_b64 vcc, s[0:1]
	v_mov_b32_e32 v10, s15
	v_div_fmas_f64 v[8:9], v[8:9], v[12:13], v[20:21]
	v_div_fixup_f64 v[4:5], v[4:5], s[2:3], v[6:7]
	v_mov_b32_e32 v7, s13
	v_add_co_u32_e32 v6, vcc, s12, v0
	v_div_fixup_f64 v[2:3], v[8:9], s[2:3], v[2:3]
	v_addc_co_u32_e32 v7, vcc, v7, v1, vcc
	v_add_co_u32_e32 v0, vcc, s14, v0
	v_addc_co_u32_e32 v1, vcc, v10, v1, vcc
	global_store_dwordx2 v[6:7], v[4:5], off
	global_store_dwordx2 v[0:1], v[2:3], off
.LBB0_6:
	s_endpgm
	.section	.rodata,"a",@progbits
	.p2align	6, 0x0
	.amdhsa_kernel _Z21gpu_apply_hamiltonianidPKiS0_PKdS2_S2_S2_S2_PdS3_
		.amdhsa_group_segment_fixed_size 0
		.amdhsa_private_segment_fixed_size 0
		.amdhsa_kernarg_size 344
		.amdhsa_user_sgpr_count 6
		.amdhsa_user_sgpr_private_segment_buffer 1
		.amdhsa_user_sgpr_dispatch_ptr 0
		.amdhsa_user_sgpr_queue_ptr 0
		.amdhsa_user_sgpr_kernarg_segment_ptr 1
		.amdhsa_user_sgpr_dispatch_id 0
		.amdhsa_user_sgpr_flat_scratch_init 0
		.amdhsa_user_sgpr_private_segment_size 0
		.amdhsa_uses_dynamic_stack 0
		.amdhsa_system_sgpr_private_segment_wavefront_offset 0
		.amdhsa_system_sgpr_workgroup_id_x 1
		.amdhsa_system_sgpr_workgroup_id_y 0
		.amdhsa_system_sgpr_workgroup_id_z 0
		.amdhsa_system_sgpr_workgroup_info 0
		.amdhsa_system_vgpr_workitem_id 0
		.amdhsa_next_free_vgpr 27
		.amdhsa_next_free_sgpr 21
		.amdhsa_reserve_vcc 1
		.amdhsa_reserve_flat_scratch 0
		.amdhsa_float_round_mode_32 0
		.amdhsa_float_round_mode_16_64 0
		.amdhsa_float_denorm_mode_32 3
		.amdhsa_float_denorm_mode_16_64 3
		.amdhsa_dx10_clamp 1
		.amdhsa_ieee_mode 1
		.amdhsa_fp16_overflow 0
		.amdhsa_exception_fp_ieee_invalid_op 0
		.amdhsa_exception_fp_denorm_src 0
		.amdhsa_exception_fp_ieee_div_zero 0
		.amdhsa_exception_fp_ieee_overflow 0
		.amdhsa_exception_fp_ieee_underflow 0
		.amdhsa_exception_fp_ieee_inexact 0
		.amdhsa_exception_int_div_zero 0
	.end_amdhsa_kernel
	.text
.Lfunc_end0:
	.size	_Z21gpu_apply_hamiltonianidPKiS0_PKdS2_S2_S2_S2_PdS3_, .Lfunc_end0-_Z21gpu_apply_hamiltonianidPKiS0_PKdS2_S2_S2_S2_PdS3_
                                        ; -- End function
	.set _Z21gpu_apply_hamiltonianidPKiS0_PKdS2_S2_S2_S2_PdS3_.num_vgpr, 27
	.set _Z21gpu_apply_hamiltonianidPKiS0_PKdS2_S2_S2_S2_PdS3_.num_agpr, 0
	.set _Z21gpu_apply_hamiltonianidPKiS0_PKdS2_S2_S2_S2_PdS3_.numbered_sgpr, 21
	.set _Z21gpu_apply_hamiltonianidPKiS0_PKdS2_S2_S2_S2_PdS3_.num_named_barrier, 0
	.set _Z21gpu_apply_hamiltonianidPKiS0_PKdS2_S2_S2_S2_PdS3_.private_seg_size, 0
	.set _Z21gpu_apply_hamiltonianidPKiS0_PKdS2_S2_S2_S2_PdS3_.uses_vcc, 1
	.set _Z21gpu_apply_hamiltonianidPKiS0_PKdS2_S2_S2_S2_PdS3_.uses_flat_scratch, 0
	.set _Z21gpu_apply_hamiltonianidPKiS0_PKdS2_S2_S2_S2_PdS3_.has_dyn_sized_stack, 0
	.set _Z21gpu_apply_hamiltonianidPKiS0_PKdS2_S2_S2_S2_PdS3_.has_recursion, 0
	.set _Z21gpu_apply_hamiltonianidPKiS0_PKdS2_S2_S2_S2_PdS3_.has_indirect_call, 0
	.section	.AMDGPU.csdata,"",@progbits
; Kernel info:
; codeLenInByte = 696
; TotalNumSgprs: 25
; NumVgprs: 27
; ScratchSize: 0
; MemoryBound: 0
; FloatMode: 240
; IeeeMode: 1
; LDSByteSize: 0 bytes/workgroup (compile time only)
; SGPRBlocks: 3
; VGPRBlocks: 6
; NumSGPRsForWavesPerEU: 25
; NumVGPRsForWavesPerEU: 27
; Occupancy: 9
; WaveLimiterHint : 1
; COMPUTE_PGM_RSRC2:SCRATCH_EN: 0
; COMPUTE_PGM_RSRC2:USER_SGPR: 6
; COMPUTE_PGM_RSRC2:TRAP_HANDLER: 0
; COMPUTE_PGM_RSRC2:TGID_X_EN: 1
; COMPUTE_PGM_RSRC2:TGID_Y_EN: 0
; COMPUTE_PGM_RSRC2:TGID_Z_EN: 0
; COMPUTE_PGM_RSRC2:TIDIG_COMP_CNT: 0
	.text
	.protected	_Z20gpu_apply_commutatoridPiS_PdS0_S0_S0_S0_S0_S0_ ; -- Begin function _Z20gpu_apply_commutatoridPiS_PdS0_S0_S0_S0_S0_S0_
	.globl	_Z20gpu_apply_commutatoridPiS_PdS0_S0_S0_S0_S0_S0_
	.p2align	8
	.type	_Z20gpu_apply_commutatoridPiS_PdS0_S0_S0_S0_S0_S0_,@function
_Z20gpu_apply_commutatoridPiS_PdS0_S0_S0_S0_S0_S0_: ; @_Z20gpu_apply_commutatoridPiS_PdS0_S0_S0_S0_S0_S0_
; %bb.0:
	s_load_dword s0, s[4:5], 0x64
	s_load_dword s7, s[4:5], 0x0
	s_waitcnt lgkmcnt(0)
	s_and_b32 s0, s0, 0xffff
	s_mul_i32 s6, s6, s0
	v_add_u32_e32 v0, s6, v0
	v_cmp_gt_i32_e32 vcc, s7, v0
	s_and_saveexec_b64 s[0:1], vcc
	s_cbranch_execz .LBB1_6
; %bb.1:
	s_load_dwordx16 s[8:23], s[4:5], 0x8
	v_ashrrev_i32_e32 v1, 31, v0
	v_lshlrev_b64 v[2:3], 2, v[0:1]
	s_waitcnt lgkmcnt(0)
	v_mov_b32_e32 v4, s11
	v_add_co_u32_e32 v2, vcc, s10, v2
	v_addc_co_u32_e32 v3, vcc, v4, v3, vcc
	global_load_dword v8, v[2:3], off
	v_mov_b32_e32 v2, 0
	v_mov_b32_e32 v4, 0
	;; [unrolled: 1-line block ×4, first 2 shown]
	s_waitcnt vmcnt(0)
	v_cmp_lt_i32_e32 vcc, 0, v8
	s_and_saveexec_b64 s[0:1], vcc
	s_cbranch_execz .LBB1_5
; %bb.2:
	v_mov_b32_e32 v2, 0
	v_mov_b32_e32 v4, 0
	;; [unrolled: 1-line block ×3, first 2 shown]
	s_mov_b64 s[2:3], 0
	v_mov_b32_e32 v9, s13
	v_mov_b32_e32 v10, s15
	;; [unrolled: 1-line block ×8, first 2 shown]
.LBB1_3:                                ; =>This Inner Loop Header: Depth=1
	v_ashrrev_i32_e32 v7, 31, v6
	v_lshlrev_b64 v[15:16], 2, v[6:7]
	v_add_u32_e32 v8, -1, v8
	v_add_co_u32_e32 v15, vcc, s12, v15
	v_addc_co_u32_e32 v16, vcc, v9, v16, vcc
	global_load_dword v15, v[15:16], off
	v_lshlrev_b64 v[16:17], 3, v[6:7]
	v_add_u32_e32 v6, s7, v6
	v_add_co_u32_e32 v18, vcc, s14, v16
	v_addc_co_u32_e32 v19, vcc, v10, v17, vcc
	v_add_co_u32_e32 v20, vcc, s16, v16
	v_addc_co_u32_e32 v21, vcc, v11, v17, vcc
	;; [unrolled: 2-line block ×3, first 2 shown]
	s_waitcnt vmcnt(0)
	v_ashrrev_i32_e32 v16, 31, v15
	v_lshlrev_b64 v[15:16], 3, v[15:16]
	v_add_co_u32_e32 v24, vcc, s20, v15
	v_addc_co_u32_e32 v25, vcc, v12, v16, vcc
	v_add_co_u32_e32 v15, vcc, s22, v15
	v_addc_co_u32_e32 v16, vcc, v13, v16, vcc
	global_load_dwordx2 v[26:27], v[20:21], off
	global_load_dwordx2 v[28:29], v[15:16], off
	global_load_dwordx2 v[30:31], v[18:19], off
	global_load_dwordx2 v[32:33], v[24:25], off
	v_cmp_eq_u32_e32 vcc, 0, v8
	global_load_dwordx2 v[19:20], v[22:23], off
	s_or_b64 s[2:3], vcc, s[2:3]
	s_waitcnt vmcnt(3)
	v_mul_f64 v[15:16], v[26:27], v[28:29]
	s_waitcnt vmcnt(2)
	v_mul_f64 v[17:18], v[30:31], v[28:29]
	s_waitcnt vmcnt(1)
	v_fma_f64 v[15:16], v[30:31], v[32:33], -v[15:16]
	v_fma_f64 v[17:18], v[26:27], v[32:33], v[17:18]
	s_waitcnt vmcnt(0)
	v_fma_f64 v[2:3], -v[19:20], v[15:16], v[2:3]
	v_fma_f64 v[4:5], -v[19:20], v[17:18], v[4:5]
	s_andn2_b64 exec, exec, s[2:3]
	s_cbranch_execnz .LBB1_3
; %bb.4:
	s_or_b64 exec, exec, s[2:3]
.LBB1_5:
	s_or_b64 exec, exec, s[0:1]
	v_div_scale_f64 v[6:7], s[0:1], s[8:9], s[8:9], v[2:3]
	v_div_scale_f64 v[8:9], s[0:1], s[8:9], s[8:9], v[4:5]
	;; [unrolled: 1-line block ×3, first 2 shown]
	v_lshlrev_b64 v[0:1], 3, v[0:1]
	v_rcp_f64_e32 v[10:11], v[6:7]
	v_rcp_f64_e32 v[12:13], v[8:9]
	v_fma_f64 v[14:15], -v[6:7], v[10:11], 1.0
	v_fma_f64 v[16:17], -v[8:9], v[12:13], 1.0
	v_fma_f64 v[10:11], v[10:11], v[14:15], v[10:11]
	v_div_scale_f64 v[14:15], vcc, v[2:3], s[8:9], v[2:3]
	v_fma_f64 v[12:13], v[12:13], v[16:17], v[12:13]
	v_fma_f64 v[16:17], -v[6:7], v[10:11], 1.0
	v_fma_f64 v[20:21], -v[8:9], v[12:13], 1.0
	v_fma_f64 v[10:11], v[10:11], v[16:17], v[10:11]
	v_fma_f64 v[12:13], v[12:13], v[20:21], v[12:13]
	v_mul_f64 v[16:17], v[14:15], v[10:11]
	v_mul_f64 v[20:21], v[18:19], v[12:13]
	v_fma_f64 v[6:7], -v[6:7], v[16:17], v[14:15]
	v_fma_f64 v[8:9], -v[8:9], v[20:21], v[18:19]
	v_div_fmas_f64 v[6:7], v[6:7], v[10:11], v[16:17]
	s_mov_b64 vcc, s[0:1]
	s_load_dwordx4 s[0:3], s[4:5], 0x48
	v_div_fmas_f64 v[8:9], v[8:9], v[12:13], v[20:21]
	s_waitcnt lgkmcnt(0)
	v_mov_b32_e32 v10, s3
	v_div_fixup_f64 v[2:3], v[6:7], s[8:9], v[2:3]
	v_mov_b32_e32 v7, s1
	v_add_co_u32_e32 v6, vcc, s0, v0
	v_div_fixup_f64 v[4:5], v[8:9], s[8:9], v[4:5]
	v_addc_co_u32_e32 v7, vcc, v7, v1, vcc
	v_add_co_u32_e32 v0, vcc, s2, v0
	v_addc_co_u32_e32 v1, vcc, v10, v1, vcc
	global_store_dwordx2 v[6:7], v[2:3], off
	global_store_dwordx2 v[0:1], v[4:5], off
.LBB1_6:
	s_endpgm
	.section	.rodata,"a",@progbits
	.p2align	6, 0x0
	.amdhsa_kernel _Z20gpu_apply_commutatoridPiS_PdS0_S0_S0_S0_S0_S0_
		.amdhsa_group_segment_fixed_size 0
		.amdhsa_private_segment_fixed_size 0
		.amdhsa_kernarg_size 344
		.amdhsa_user_sgpr_count 6
		.amdhsa_user_sgpr_private_segment_buffer 1
		.amdhsa_user_sgpr_dispatch_ptr 0
		.amdhsa_user_sgpr_queue_ptr 0
		.amdhsa_user_sgpr_kernarg_segment_ptr 1
		.amdhsa_user_sgpr_dispatch_id 0
		.amdhsa_user_sgpr_flat_scratch_init 0
		.amdhsa_user_sgpr_private_segment_size 0
		.amdhsa_uses_dynamic_stack 0
		.amdhsa_system_sgpr_private_segment_wavefront_offset 0
		.amdhsa_system_sgpr_workgroup_id_x 1
		.amdhsa_system_sgpr_workgroup_id_y 0
		.amdhsa_system_sgpr_workgroup_id_z 0
		.amdhsa_system_sgpr_workgroup_info 0
		.amdhsa_system_vgpr_workitem_id 0
		.amdhsa_next_free_vgpr 34
		.amdhsa_next_free_sgpr 24
		.amdhsa_reserve_vcc 1
		.amdhsa_reserve_flat_scratch 0
		.amdhsa_float_round_mode_32 0
		.amdhsa_float_round_mode_16_64 0
		.amdhsa_float_denorm_mode_32 3
		.amdhsa_float_denorm_mode_16_64 3
		.amdhsa_dx10_clamp 1
		.amdhsa_ieee_mode 1
		.amdhsa_fp16_overflow 0
		.amdhsa_exception_fp_ieee_invalid_op 0
		.amdhsa_exception_fp_denorm_src 0
		.amdhsa_exception_fp_ieee_div_zero 0
		.amdhsa_exception_fp_ieee_overflow 0
		.amdhsa_exception_fp_ieee_underflow 0
		.amdhsa_exception_fp_ieee_inexact 0
		.amdhsa_exception_int_div_zero 0
	.end_amdhsa_kernel
	.text
.Lfunc_end1:
	.size	_Z20gpu_apply_commutatoridPiS_PdS0_S0_S0_S0_S0_S0_, .Lfunc_end1-_Z20gpu_apply_commutatoridPiS_PdS0_S0_S0_S0_S0_S0_
                                        ; -- End function
	.set _Z20gpu_apply_commutatoridPiS_PdS0_S0_S0_S0_S0_S0_.num_vgpr, 34
	.set _Z20gpu_apply_commutatoridPiS_PdS0_S0_S0_S0_S0_S0_.num_agpr, 0
	.set _Z20gpu_apply_commutatoridPiS_PdS0_S0_S0_S0_S0_S0_.numbered_sgpr, 24
	.set _Z20gpu_apply_commutatoridPiS_PdS0_S0_S0_S0_S0_S0_.num_named_barrier, 0
	.set _Z20gpu_apply_commutatoridPiS_PdS0_S0_S0_S0_S0_S0_.private_seg_size, 0
	.set _Z20gpu_apply_commutatoridPiS_PdS0_S0_S0_S0_S0_S0_.uses_vcc, 1
	.set _Z20gpu_apply_commutatoridPiS_PdS0_S0_S0_S0_S0_S0_.uses_flat_scratch, 0
	.set _Z20gpu_apply_commutatoridPiS_PdS0_S0_S0_S0_S0_S0_.has_dyn_sized_stack, 0
	.set _Z20gpu_apply_commutatoridPiS_PdS0_S0_S0_S0_S0_S0_.has_recursion, 0
	.set _Z20gpu_apply_commutatoridPiS_PdS0_S0_S0_S0_S0_S0_.has_indirect_call, 0
	.section	.AMDGPU.csdata,"",@progbits
; Kernel info:
; codeLenInByte = 636
; TotalNumSgprs: 28
; NumVgprs: 34
; ScratchSize: 0
; MemoryBound: 0
; FloatMode: 240
; IeeeMode: 1
; LDSByteSize: 0 bytes/workgroup (compile time only)
; SGPRBlocks: 3
; VGPRBlocks: 8
; NumSGPRsForWavesPerEU: 28
; NumVGPRsForWavesPerEU: 34
; Occupancy: 7
; WaveLimiterHint : 1
; COMPUTE_PGM_RSRC2:SCRATCH_EN: 0
; COMPUTE_PGM_RSRC2:USER_SGPR: 6
; COMPUTE_PGM_RSRC2:TRAP_HANDLER: 0
; COMPUTE_PGM_RSRC2:TGID_X_EN: 1
; COMPUTE_PGM_RSRC2:TGID_Y_EN: 0
; COMPUTE_PGM_RSRC2:TGID_Z_EN: 0
; COMPUTE_PGM_RSRC2:TIDIG_COMP_CNT: 0
	.text
	.protected	_Z17gpu_apply_currentiPKiS0_PKdS2_S2_S2_S2_PdS3_ ; -- Begin function _Z17gpu_apply_currentiPKiS0_PKdS2_S2_S2_S2_PdS3_
	.globl	_Z17gpu_apply_currentiPKiS0_PKdS2_S2_S2_S2_PdS3_
	.p2align	8
	.type	_Z17gpu_apply_currentiPKiS0_PKdS2_S2_S2_S2_PdS3_,@function
_Z17gpu_apply_currentiPKiS0_PKdS2_S2_S2_S2_PdS3_: ; @_Z17gpu_apply_currentiPKiS0_PKdS2_S2_S2_S2_PdS3_
; %bb.0:
	s_load_dword s0, s[4:5], 0x5c
	s_load_dword s20, s[4:5], 0x0
	s_waitcnt lgkmcnt(0)
	s_and_b32 s0, s0, 0xffff
	s_mul_i32 s6, s6, s0
	v_add_u32_e32 v0, s6, v0
	v_cmp_gt_i32_e32 vcc, s20, v0
	s_and_saveexec_b64 s[0:1], vcc
	s_cbranch_execz .LBB2_6
; %bb.1:
	s_load_dwordx2 s[0:1], s[4:5], 0x8
	v_ashrrev_i32_e32 v1, 31, v0
	v_lshlrev_b64 v[2:3], 2, v[0:1]
	s_waitcnt lgkmcnt(0)
	v_mov_b32_e32 v4, s1
	v_add_co_u32_e32 v2, vcc, s0, v2
	v_addc_co_u32_e32 v3, vcc, v4, v3, vcc
	global_load_dword v8, v[2:3], off
	s_load_dwordx4 s[0:3], s[4:5], 0x40
	v_mov_b32_e32 v2, 0
	v_mov_b32_e32 v4, 0
	v_mov_b32_e32 v3, 0
	v_mov_b32_e32 v5, 0
	s_waitcnt vmcnt(0)
	v_cmp_lt_i32_e32 vcc, 0, v8
	s_and_saveexec_b64 s[6:7], vcc
	s_cbranch_execz .LBB2_5
; %bb.2:
	s_load_dwordx8 s[8:15], s[4:5], 0x10
	s_load_dwordx4 s[16:19], s[4:5], 0x30
	v_mov_b32_e32 v2, 0
	v_mov_b32_e32 v4, 0
	;; [unrolled: 1-line block ×3, first 2 shown]
	s_mov_b64 s[4:5], 0
	s_waitcnt lgkmcnt(0)
	v_mov_b32_e32 v9, s9
	v_mov_b32_e32 v10, s11
	;; [unrolled: 1-line block ×8, first 2 shown]
.LBB2_3:                                ; =>This Inner Loop Header: Depth=1
	v_ashrrev_i32_e32 v7, 31, v6
	v_lshlrev_b64 v[15:16], 2, v[6:7]
	v_add_u32_e32 v8, -1, v8
	v_add_co_u32_e32 v15, vcc, s8, v15
	v_addc_co_u32_e32 v16, vcc, v9, v16, vcc
	global_load_dword v15, v[15:16], off
	v_lshlrev_b64 v[16:17], 3, v[6:7]
	v_add_u32_e32 v6, s20, v6
	v_add_co_u32_e32 v18, vcc, s10, v16
	v_addc_co_u32_e32 v19, vcc, v10, v17, vcc
	v_add_co_u32_e32 v20, vcc, s12, v16
	v_addc_co_u32_e32 v21, vcc, v11, v17, vcc
	;; [unrolled: 2-line block ×3, first 2 shown]
	s_waitcnt vmcnt(0)
	v_ashrrev_i32_e32 v16, 31, v15
	v_lshlrev_b64 v[15:16], 3, v[15:16]
	v_add_co_u32_e32 v24, vcc, s16, v15
	v_addc_co_u32_e32 v25, vcc, v12, v16, vcc
	v_add_co_u32_e32 v15, vcc, s18, v15
	v_addc_co_u32_e32 v16, vcc, v13, v16, vcc
	global_load_dwordx2 v[26:27], v[20:21], off
	global_load_dwordx2 v[28:29], v[15:16], off
	;; [unrolled: 1-line block ×4, first 2 shown]
	v_cmp_eq_u32_e32 vcc, 0, v8
	global_load_dwordx2 v[19:20], v[22:23], off
	s_or_b64 s[4:5], vcc, s[4:5]
	s_waitcnt vmcnt(3)
	v_mul_f64 v[15:16], v[26:27], v[28:29]
	s_waitcnt vmcnt(2)
	v_mul_f64 v[17:18], v[30:31], v[28:29]
	s_waitcnt vmcnt(1)
	v_fma_f64 v[15:16], v[30:31], v[32:33], -v[15:16]
	v_fma_f64 v[17:18], v[26:27], v[32:33], v[17:18]
	s_waitcnt vmcnt(0)
	v_fma_f64 v[2:3], v[19:20], v[15:16], v[2:3]
	v_fma_f64 v[4:5], v[19:20], v[17:18], v[4:5]
	s_andn2_b64 exec, exec, s[4:5]
	s_cbranch_execnz .LBB2_3
; %bb.4:
	s_or_b64 exec, exec, s[4:5]
.LBB2_5:
	s_or_b64 exec, exec, s[6:7]
	v_lshlrev_b64 v[0:1], 3, v[0:1]
	s_waitcnt lgkmcnt(0)
	v_mov_b32_e32 v7, s1
	v_add_co_u32_e32 v6, vcc, s0, v0
	v_addc_co_u32_e32 v7, vcc, v7, v1, vcc
	global_store_dwordx2 v[6:7], v[4:5], off
	v_mov_b32_e32 v4, s3
	v_add_co_u32_e32 v0, vcc, s2, v0
	v_xor_b32_e32 v3, 0x80000000, v3
	v_addc_co_u32_e32 v1, vcc, v4, v1, vcc
	global_store_dwordx2 v[0:1], v[2:3], off
.LBB2_6:
	s_endpgm
	.section	.rodata,"a",@progbits
	.p2align	6, 0x0
	.amdhsa_kernel _Z17gpu_apply_currentiPKiS0_PKdS2_S2_S2_S2_PdS3_
		.amdhsa_group_segment_fixed_size 0
		.amdhsa_private_segment_fixed_size 0
		.amdhsa_kernarg_size 336
		.amdhsa_user_sgpr_count 6
		.amdhsa_user_sgpr_private_segment_buffer 1
		.amdhsa_user_sgpr_dispatch_ptr 0
		.amdhsa_user_sgpr_queue_ptr 0
		.amdhsa_user_sgpr_kernarg_segment_ptr 1
		.amdhsa_user_sgpr_dispatch_id 0
		.amdhsa_user_sgpr_flat_scratch_init 0
		.amdhsa_user_sgpr_private_segment_size 0
		.amdhsa_uses_dynamic_stack 0
		.amdhsa_system_sgpr_private_segment_wavefront_offset 0
		.amdhsa_system_sgpr_workgroup_id_x 1
		.amdhsa_system_sgpr_workgroup_id_y 0
		.amdhsa_system_sgpr_workgroup_id_z 0
		.amdhsa_system_sgpr_workgroup_info 0
		.amdhsa_system_vgpr_workitem_id 0
		.amdhsa_next_free_vgpr 34
		.amdhsa_next_free_sgpr 21
		.amdhsa_reserve_vcc 1
		.amdhsa_reserve_flat_scratch 0
		.amdhsa_float_round_mode_32 0
		.amdhsa_float_round_mode_16_64 0
		.amdhsa_float_denorm_mode_32 3
		.amdhsa_float_denorm_mode_16_64 3
		.amdhsa_dx10_clamp 1
		.amdhsa_ieee_mode 1
		.amdhsa_fp16_overflow 0
		.amdhsa_exception_fp_ieee_invalid_op 0
		.amdhsa_exception_fp_denorm_src 0
		.amdhsa_exception_fp_ieee_div_zero 0
		.amdhsa_exception_fp_ieee_overflow 0
		.amdhsa_exception_fp_ieee_underflow 0
		.amdhsa_exception_fp_ieee_inexact 0
		.amdhsa_exception_int_div_zero 0
	.end_amdhsa_kernel
	.text
.Lfunc_end2:
	.size	_Z17gpu_apply_currentiPKiS0_PKdS2_S2_S2_S2_PdS3_, .Lfunc_end2-_Z17gpu_apply_currentiPKiS0_PKdS2_S2_S2_S2_PdS3_
                                        ; -- End function
	.set _Z17gpu_apply_currentiPKiS0_PKdS2_S2_S2_S2_PdS3_.num_vgpr, 34
	.set _Z17gpu_apply_currentiPKiS0_PKdS2_S2_S2_S2_PdS3_.num_agpr, 0
	.set _Z17gpu_apply_currentiPKiS0_PKdS2_S2_S2_S2_PdS3_.numbered_sgpr, 21
	.set _Z17gpu_apply_currentiPKiS0_PKdS2_S2_S2_S2_PdS3_.num_named_barrier, 0
	.set _Z17gpu_apply_currentiPKiS0_PKdS2_S2_S2_S2_PdS3_.private_seg_size, 0
	.set _Z17gpu_apply_currentiPKiS0_PKdS2_S2_S2_S2_PdS3_.uses_vcc, 1
	.set _Z17gpu_apply_currentiPKiS0_PKdS2_S2_S2_S2_PdS3_.uses_flat_scratch, 0
	.set _Z17gpu_apply_currentiPKiS0_PKdS2_S2_S2_S2_PdS3_.has_dyn_sized_stack, 0
	.set _Z17gpu_apply_currentiPKiS0_PKdS2_S2_S2_S2_PdS3_.has_recursion, 0
	.set _Z17gpu_apply_currentiPKiS0_PKdS2_S2_S2_S2_PdS3_.has_indirect_call, 0
	.section	.AMDGPU.csdata,"",@progbits
; Kernel info:
; codeLenInByte = 492
; TotalNumSgprs: 25
; NumVgprs: 34
; ScratchSize: 0
; MemoryBound: 0
; FloatMode: 240
; IeeeMode: 1
; LDSByteSize: 0 bytes/workgroup (compile time only)
; SGPRBlocks: 3
; VGPRBlocks: 8
; NumSGPRsForWavesPerEU: 25
; NumVGPRsForWavesPerEU: 34
; Occupancy: 7
; WaveLimiterHint : 1
; COMPUTE_PGM_RSRC2:SCRATCH_EN: 0
; COMPUTE_PGM_RSRC2:USER_SGPR: 6
; COMPUTE_PGM_RSRC2:TRAP_HANDLER: 0
; COMPUTE_PGM_RSRC2:TGID_X_EN: 1
; COMPUTE_PGM_RSRC2:TGID_Y_EN: 0
; COMPUTE_PGM_RSRC2:TGID_Z_EN: 0
; COMPUTE_PGM_RSRC2:TIDIG_COMP_CNT: 0
	.text
	.protected	_Z16gpu_chebyshev_01iPKdS0_S0_S0_PdS1_ddi ; -- Begin function _Z16gpu_chebyshev_01iPKdS0_S0_S0_PdS1_ddi
	.globl	_Z16gpu_chebyshev_01iPKdS0_S0_S0_PdS1_ddi
	.p2align	8
	.type	_Z16gpu_chebyshev_01iPKdS0_S0_S0_PdS1_ddi,@function
_Z16gpu_chebyshev_01iPKdS0_S0_S0_PdS1_ddi: ; @_Z16gpu_chebyshev_01iPKdS0_S0_S0_PdS1_ddi
; %bb.0:
	s_load_dword s0, s[4:5], 0x5c
	s_load_dword s1, s[4:5], 0x0
	s_waitcnt lgkmcnt(0)
	s_and_b32 s0, s0, 0xffff
	s_mul_i32 s6, s6, s0
	v_add_u32_e32 v0, s6, v0
	v_cmp_gt_i32_e32 vcc, s1, v0
	s_and_saveexec_b64 s[0:1], vcc
	s_cbranch_execz .LBB3_2
; %bb.1:
	s_load_dwordx8 s[8:15], s[4:5], 0x8
	v_ashrrev_i32_e32 v1, 31, v0
	v_lshlrev_b64 v[0:1], 3, v[0:1]
	s_waitcnt lgkmcnt(0)
	v_mov_b32_e32 v3, s15
	v_add_co_u32_e32 v2, vcc, s14, v0
	v_addc_co_u32_e32 v3, vcc, v3, v1, vcc
	v_mov_b32_e32 v5, s13
	v_add_co_u32_e32 v4, vcc, s12, v0
	global_load_dwordx2 v[2:3], v[2:3], off
	v_addc_co_u32_e32 v5, vcc, v5, v1, vcc
	global_load_dwordx2 v[4:5], v[4:5], off
	v_mov_b32_e32 v7, s9
	v_add_co_u32_e32 v6, vcc, s8, v0
	v_addc_co_u32_e32 v7, vcc, v7, v1, vcc
	v_mov_b32_e32 v9, s11
	v_add_co_u32_e32 v8, vcc, s10, v0
	global_load_dwordx2 v[6:7], v[6:7], off
	v_addc_co_u32_e32 v9, vcc, v9, v1, vcc
	global_load_dwordx2 v[8:9], v[8:9], off
	s_load_dword s0, s[4:5], 0x48
	s_load_dwordx8 s[8:15], s[4:5], 0x28
	s_waitcnt lgkmcnt(0)
	v_cvt_f64_i32_e32 v[10:11], s0
	v_mul_f64 v[10:11], s[14:15], v[10:11]
	s_waitcnt vmcnt(3)
	v_mul_f64 v[2:3], v[10:11], v[2:3]
	s_waitcnt vmcnt(2)
	v_mul_f64 v[4:5], v[10:11], v[4:5]
	v_mov_b32_e32 v10, s9
	v_mov_b32_e32 v11, s11
	s_waitcnt vmcnt(1)
	v_fma_f64 v[2:3], s[12:13], v[6:7], v[2:3]
	v_add_co_u32_e32 v6, vcc, s8, v0
	s_waitcnt vmcnt(0)
	v_fma_f64 v[4:5], s[12:13], v[8:9], -v[4:5]
	v_addc_co_u32_e32 v7, vcc, v10, v1, vcc
	v_add_co_u32_e32 v0, vcc, s10, v0
	v_addc_co_u32_e32 v1, vcc, v11, v1, vcc
	global_store_dwordx2 v[6:7], v[2:3], off
	global_store_dwordx2 v[0:1], v[4:5], off
.LBB3_2:
	s_endpgm
	.section	.rodata,"a",@progbits
	.p2align	6, 0x0
	.amdhsa_kernel _Z16gpu_chebyshev_01iPKdS0_S0_S0_PdS1_ddi
		.amdhsa_group_segment_fixed_size 0
		.amdhsa_private_segment_fixed_size 0
		.amdhsa_kernarg_size 336
		.amdhsa_user_sgpr_count 6
		.amdhsa_user_sgpr_private_segment_buffer 1
		.amdhsa_user_sgpr_dispatch_ptr 0
		.amdhsa_user_sgpr_queue_ptr 0
		.amdhsa_user_sgpr_kernarg_segment_ptr 1
		.amdhsa_user_sgpr_dispatch_id 0
		.amdhsa_user_sgpr_flat_scratch_init 0
		.amdhsa_user_sgpr_private_segment_size 0
		.amdhsa_uses_dynamic_stack 0
		.amdhsa_system_sgpr_private_segment_wavefront_offset 0
		.amdhsa_system_sgpr_workgroup_id_x 1
		.amdhsa_system_sgpr_workgroup_id_y 0
		.amdhsa_system_sgpr_workgroup_id_z 0
		.amdhsa_system_sgpr_workgroup_info 0
		.amdhsa_system_vgpr_workitem_id 0
		.amdhsa_next_free_vgpr 12
		.amdhsa_next_free_sgpr 16
		.amdhsa_reserve_vcc 1
		.amdhsa_reserve_flat_scratch 0
		.amdhsa_float_round_mode_32 0
		.amdhsa_float_round_mode_16_64 0
		.amdhsa_float_denorm_mode_32 3
		.amdhsa_float_denorm_mode_16_64 3
		.amdhsa_dx10_clamp 1
		.amdhsa_ieee_mode 1
		.amdhsa_fp16_overflow 0
		.amdhsa_exception_fp_ieee_invalid_op 0
		.amdhsa_exception_fp_denorm_src 0
		.amdhsa_exception_fp_ieee_div_zero 0
		.amdhsa_exception_fp_ieee_overflow 0
		.amdhsa_exception_fp_ieee_underflow 0
		.amdhsa_exception_fp_ieee_inexact 0
		.amdhsa_exception_int_div_zero 0
	.end_amdhsa_kernel
	.text
.Lfunc_end3:
	.size	_Z16gpu_chebyshev_01iPKdS0_S0_S0_PdS1_ddi, .Lfunc_end3-_Z16gpu_chebyshev_01iPKdS0_S0_S0_PdS1_ddi
                                        ; -- End function
	.set _Z16gpu_chebyshev_01iPKdS0_S0_S0_PdS1_ddi.num_vgpr, 12
	.set _Z16gpu_chebyshev_01iPKdS0_S0_S0_PdS1_ddi.num_agpr, 0
	.set _Z16gpu_chebyshev_01iPKdS0_S0_S0_PdS1_ddi.numbered_sgpr, 16
	.set _Z16gpu_chebyshev_01iPKdS0_S0_S0_PdS1_ddi.num_named_barrier, 0
	.set _Z16gpu_chebyshev_01iPKdS0_S0_S0_PdS1_ddi.private_seg_size, 0
	.set _Z16gpu_chebyshev_01iPKdS0_S0_S0_PdS1_ddi.uses_vcc, 1
	.set _Z16gpu_chebyshev_01iPKdS0_S0_S0_PdS1_ddi.uses_flat_scratch, 0
	.set _Z16gpu_chebyshev_01iPKdS0_S0_S0_PdS1_ddi.has_dyn_sized_stack, 0
	.set _Z16gpu_chebyshev_01iPKdS0_S0_S0_PdS1_ddi.has_recursion, 0
	.set _Z16gpu_chebyshev_01iPKdS0_S0_S0_PdS1_ddi.has_indirect_call, 0
	.section	.AMDGPU.csdata,"",@progbits
; Kernel info:
; codeLenInByte = 276
; TotalNumSgprs: 20
; NumVgprs: 12
; ScratchSize: 0
; MemoryBound: 0
; FloatMode: 240
; IeeeMode: 1
; LDSByteSize: 0 bytes/workgroup (compile time only)
; SGPRBlocks: 2
; VGPRBlocks: 2
; NumSGPRsForWavesPerEU: 20
; NumVGPRsForWavesPerEU: 12
; Occupancy: 10
; WaveLimiterHint : 0
; COMPUTE_PGM_RSRC2:SCRATCH_EN: 0
; COMPUTE_PGM_RSRC2:USER_SGPR: 6
; COMPUTE_PGM_RSRC2:TRAP_HANDLER: 0
; COMPUTE_PGM_RSRC2:TGID_X_EN: 1
; COMPUTE_PGM_RSRC2:TGID_Y_EN: 0
; COMPUTE_PGM_RSRC2:TGID_Z_EN: 0
; COMPUTE_PGM_RSRC2:TIDIG_COMP_CNT: 0
	.text
	.protected	_Z15gpu_chebyshev_2idPKiS0_PKdS2_S2_S2_S2_S2_S2_PdS3_S3_S3_di ; -- Begin function _Z15gpu_chebyshev_2idPKiS0_PKdS2_S2_S2_S2_S2_S2_PdS3_S3_S3_di
	.globl	_Z15gpu_chebyshev_2idPKiS0_PKdS2_S2_S2_S2_S2_S2_PdS3_S3_S3_di
	.p2align	8
	.type	_Z15gpu_chebyshev_2idPKiS0_PKdS2_S2_S2_S2_S2_S2_PdS3_S3_S3_di,@function
_Z15gpu_chebyshev_2idPKiS0_PKdS2_S2_S2_S2_S2_S2_PdS3_S3_S3_di: ; @_Z15gpu_chebyshev_2idPKiS0_PKdS2_S2_S2_S2_S2_S2_PdS3_S3_S3_di
; %bb.0:
	s_load_dword s0, s[4:5], 0x94
	s_load_dword s28, s[4:5], 0x0
	s_waitcnt lgkmcnt(0)
	s_and_b32 s0, s0, 0xffff
	s_mul_i32 s6, s6, s0
	v_add_u32_e32 v6, s6, v0
	v_cmp_gt_i32_e32 vcc, s28, v6
	s_and_saveexec_b64 s[0:1], vcc
	s_cbranch_execz .LBB4_20
; %bb.1:
	s_load_dwordx2 s[0:1], s[4:5], 0x20
	s_load_dwordx2 s[2:3], s[4:5], 0x10
	s_load_dwordx8 s[16:23], s[4:5], 0x38
	v_ashrrev_i32_e32 v7, 31, v6
	v_lshlrev_b64 v[0:1], 3, v[6:7]
	s_waitcnt lgkmcnt(0)
	v_mov_b32_e32 v3, s1
	v_add_co_u32_e32 v2, vcc, s0, v0
	v_addc_co_u32_e32 v3, vcc, v3, v1, vcc
	global_load_dwordx2 v[4:5], v[2:3], off
	v_mov_b32_e32 v3, s21
	v_add_co_u32_e32 v2, vcc, s20, v0
	v_addc_co_u32_e32 v3, vcc, v3, v1, vcc
	v_mov_b32_e32 v9, s23
	v_add_co_u32_e32 v8, vcc, s22, v0
	v_addc_co_u32_e32 v9, vcc, v9, v1, vcc
	global_load_dwordx2 v[2:3], v[2:3], off
	v_mov_b32_e32 v11, s3
	global_load_dwordx2 v[9:10], v[8:9], off
	v_lshlrev_b64 v[7:8], 2, v[6:7]
	s_load_dwordx8 s[8:15], s[4:5], 0x58
	v_add_co_u32_e32 v7, vcc, s2, v7
	v_addc_co_u32_e32 v8, vcc, v11, v8, vcc
	global_load_dword v8, v[7:8], off
	s_waitcnt vmcnt(2)
	v_mul_f64 v[2:3], v[4:5], v[2:3]
	s_waitcnt vmcnt(1)
	v_mul_f64 v[4:5], v[4:5], v[9:10]
	s_waitcnt vmcnt(0)
	v_cmp_lt_i32_e32 vcc, 0, v8
	s_and_saveexec_b64 s[6:7], vcc
	s_cbranch_execz .LBB4_5
; %bb.2:
	s_load_dwordx2 s[24:25], s[4:5], 0x18
	s_load_dwordx4 s[0:3], s[4:5], 0x28
	s_mov_b64 s[26:27], 0
	v_mov_b32_e32 v12, s21
	v_mov_b32_e32 v13, s23
	s_waitcnt lgkmcnt(0)
	v_mov_b32_e32 v9, s25
	v_mov_b32_e32 v10, s1
	v_mov_b32_e32 v11, s3
.LBB4_3:                                ; =>This Inner Loop Header: Depth=1
	v_ashrrev_i32_e32 v7, 31, v6
	v_lshlrev_b64 v[14:15], 2, v[6:7]
	v_add_u32_e32 v8, -1, v8
	v_add_co_u32_e32 v14, vcc, s24, v14
	v_addc_co_u32_e32 v15, vcc, v9, v15, vcc
	global_load_dword v14, v[14:15], off
	v_lshlrev_b64 v[15:16], 3, v[6:7]
	v_add_u32_e32 v6, s28, v6
	v_add_co_u32_e32 v17, vcc, s0, v15
	v_addc_co_u32_e32 v18, vcc, v10, v16, vcc
	v_add_co_u32_e32 v15, vcc, s2, v15
	v_addc_co_u32_e32 v16, vcc, v11, v16, vcc
	global_load_dwordx2 v[19:20], v[15:16], off
	s_waitcnt vmcnt(1)
	v_ashrrev_i32_e32 v15, 31, v14
	v_lshlrev_b64 v[14:15], 3, v[14:15]
	v_add_co_u32_e32 v21, vcc, s22, v14
	v_addc_co_u32_e32 v22, vcc, v13, v15, vcc
	global_load_dwordx2 v[23:24], v[21:22], off
	global_load_dwordx2 v[25:26], v[17:18], off
	v_add_co_u32_e32 v14, vcc, s20, v14
	v_addc_co_u32_e32 v15, vcc, v12, v15, vcc
	global_load_dwordx2 v[14:15], v[14:15], off
	v_cmp_eq_u32_e32 vcc, 0, v8
	s_or_b64 s[26:27], vcc, s[26:27]
	s_waitcnt vmcnt(2)
	v_mul_f64 v[16:17], v[19:20], v[23:24]
	s_waitcnt vmcnt(1)
	v_mul_f64 v[21:22], v[25:26], v[23:24]
	s_waitcnt vmcnt(0)
	v_fma_f64 v[16:17], v[25:26], v[14:15], -v[16:17]
	v_fma_f64 v[14:15], v[19:20], v[14:15], v[21:22]
	v_add_f64 v[2:3], v[2:3], v[16:17]
	v_add_f64 v[4:5], v[4:5], v[14:15]
	s_andn2_b64 exec, exec, s[26:27]
	s_cbranch_execnz .LBB4_3
; %bb.4:
	s_or_b64 exec, exec, s[26:27]
.LBB4_5:
	s_or_b64 exec, exec, s[6:7]
	s_load_dwordx2 s[20:21], s[4:5], 0x8
	s_load_dwordx2 s[2:3], s[4:5], 0x78
	s_load_dword s6, s[4:5], 0x80
	v_mov_b32_e32 v15, s17
	v_add_co_u32_e32 v14, vcc, s16, v0
	s_waitcnt lgkmcnt(0)
	v_div_scale_f64 v[6:7], s[0:1], s[20:21], s[20:21], v[2:3]
	v_div_scale_f64 v[8:9], s[0:1], s[20:21], s[20:21], v[4:5]
	v_addc_co_u32_e32 v15, vcc, v15, v1, vcc
	v_mov_b32_e32 v19, s19
	v_add_co_u32_e32 v18, vcc, s18, v0
	v_addc_co_u32_e32 v19, vcc, v19, v1, vcc
	global_load_dwordx2 v[20:21], v[14:15], off
	global_load_dwordx2 v[22:23], v[18:19], off
	s_cmp_lt_i32 s6, 3
	v_rcp_f64_e32 v[10:11], v[6:7]
	v_rcp_f64_e32 v[12:13], v[8:9]
	v_fma_f64 v[16:17], -v[6:7], v[10:11], 1.0
	v_fma_f64 v[14:15], -v[8:9], v[12:13], 1.0
	v_fma_f64 v[10:11], v[10:11], v[16:17], v[10:11]
	v_div_scale_f64 v[16:17], vcc, v[2:3], s[20:21], v[2:3]
	v_fma_f64 v[12:13], v[12:13], v[14:15], v[12:13]
	v_fma_f64 v[14:15], -v[6:7], v[10:11], 1.0
	v_fma_f64 v[18:19], -v[8:9], v[12:13], 1.0
	v_fma_f64 v[10:11], v[10:11], v[14:15], v[10:11]
	v_div_scale_f64 v[14:15], s[0:1], v[4:5], s[20:21], v[4:5]
	v_fma_f64 v[12:13], v[12:13], v[18:19], v[12:13]
	v_mul_f64 v[18:19], v[16:17], v[10:11]
	v_fma_f64 v[6:7], -v[6:7], v[18:19], v[16:17]
	v_mul_f64 v[16:17], v[14:15], v[12:13]
	v_div_fmas_f64 v[6:7], v[6:7], v[10:11], v[18:19]
	v_fma_f64 v[8:9], -v[8:9], v[16:17], v[14:15]
	s_mov_b64 vcc, s[0:1]
	s_mov_b64 s[0:1], -1
	v_div_fmas_f64 v[8:9], v[8:9], v[12:13], v[16:17]
	v_div_fixup_f64 v[2:3], v[6:7], s[20:21], v[2:3]
	v_div_fixup_f64 v[6:7], v[8:9], s[20:21], v[4:5]
	s_waitcnt vmcnt(1)
	v_fma_f64 v[4:5], v[2:3], 2.0, -v[20:21]
	s_waitcnt vmcnt(0)
	v_fma_f64 v[2:3], v[6:7], 2.0, -v[22:23]
	s_cbranch_scc1 .LBB4_13
; %bb.6:
	s_cmp_lt_i32 s6, 4
	s_cbranch_scc1 .LBB4_10
; %bb.7:
	s_cmp_eq_u32 s6, 4
	s_cbranch_scc0 .LBB4_9
; %bb.8:
	v_mov_b32_e32 v7, s13
	v_add_co_u32_e32 v6, vcc, s12, v0
	v_addc_co_u32_e32 v7, vcc, v7, v1, vcc
	v_mov_b32_e32 v11, s15
	v_add_co_u32_e32 v10, vcc, s14, v0
	global_load_dwordx2 v[8:9], v[6:7], off
	v_addc_co_u32_e32 v11, vcc, v11, v1, vcc
	global_load_dwordx2 v[12:13], v[10:11], off
	s_waitcnt vmcnt(1)
	v_fma_f64 v[8:9], -s[2:3], v[2:3], v[8:9]
	s_waitcnt vmcnt(0)
	v_fma_f64 v[12:13], s[2:3], v[4:5], v[12:13]
	global_store_dwordx2 v[6:7], v[8:9], off
	global_store_dwordx2 v[10:11], v[12:13], off
.LBB4_9:
	s_mov_b64 s[0:1], 0
.LBB4_10:
	s_andn2_b64 vcc, exec, s[0:1]
	s_cbranch_vccnz .LBB4_12
; %bb.11:
	v_mov_b32_e32 v7, s13
	v_add_co_u32_e32 v6, vcc, s12, v0
	v_addc_co_u32_e32 v7, vcc, v7, v1, vcc
	v_mov_b32_e32 v11, s15
	v_add_co_u32_e32 v10, vcc, s14, v0
	global_load_dwordx2 v[8:9], v[6:7], off
	v_addc_co_u32_e32 v11, vcc, v11, v1, vcc
	global_load_dwordx2 v[12:13], v[10:11], off
	s_waitcnt vmcnt(1)
	v_fma_f64 v[8:9], s[2:3], v[2:3], v[8:9]
	s_waitcnt vmcnt(0)
	v_fma_f64 v[12:13], -s[2:3], v[4:5], v[12:13]
	global_store_dwordx2 v[6:7], v[8:9], off
	global_store_dwordx2 v[10:11], v[12:13], off
.LBB4_12:
	s_mov_b64 s[0:1], 0
.LBB4_13:
	s_andn2_b64 vcc, exec, s[0:1]
	s_cbranch_vccnz .LBB4_19
; %bb.14:
	s_cmp_gt_i32 s6, 1
	s_mov_b64 s[0:1], -1
	s_cbranch_scc0 .LBB4_16
; %bb.15:
	v_mov_b32_e32 v7, s13
	v_add_co_u32_e32 v6, vcc, s12, v0
	v_addc_co_u32_e32 v7, vcc, v7, v1, vcc
	v_mov_b32_e32 v11, s15
	v_add_co_u32_e32 v10, vcc, s14, v0
	global_load_dwordx2 v[8:9], v[6:7], off
	v_addc_co_u32_e32 v11, vcc, v11, v1, vcc
	global_load_dwordx2 v[12:13], v[10:11], off
	s_mov_b64 s[0:1], 0
	s_waitcnt vmcnt(1)
	v_fma_f64 v[8:9], -s[2:3], v[4:5], v[8:9]
	s_waitcnt vmcnt(0)
	v_fma_f64 v[12:13], -s[2:3], v[2:3], v[12:13]
	global_store_dwordx2 v[6:7], v[8:9], off
	global_store_dwordx2 v[10:11], v[12:13], off
.LBB4_16:
	s_andn2_b64 vcc, exec, s[0:1]
	s_cbranch_vccnz .LBB4_19
; %bb.17:
	s_cmp_eq_u32 s6, 1
	s_cbranch_scc0 .LBB4_19
; %bb.18:
	v_mov_b32_e32 v7, s13
	v_add_co_u32_e32 v6, vcc, s12, v0
	v_addc_co_u32_e32 v7, vcc, v7, v1, vcc
	v_mov_b32_e32 v11, s15
	v_add_co_u32_e32 v10, vcc, s14, v0
	global_load_dwordx2 v[8:9], v[6:7], off
	v_addc_co_u32_e32 v11, vcc, v11, v1, vcc
	global_load_dwordx2 v[12:13], v[10:11], off
	s_waitcnt vmcnt(1)
	v_fma_f64 v[8:9], s[2:3], v[4:5], v[8:9]
	s_waitcnt vmcnt(0)
	v_fma_f64 v[12:13], s[2:3], v[2:3], v[12:13]
	global_store_dwordx2 v[6:7], v[8:9], off
	global_store_dwordx2 v[10:11], v[12:13], off
.LBB4_19:
	v_mov_b32_e32 v7, s9
	v_add_co_u32_e32 v6, vcc, s8, v0
	v_addc_co_u32_e32 v7, vcc, v7, v1, vcc
	global_store_dwordx2 v[6:7], v[4:5], off
	v_mov_b32_e32 v4, s11
	v_add_co_u32_e32 v0, vcc, s10, v0
	v_addc_co_u32_e32 v1, vcc, v4, v1, vcc
	global_store_dwordx2 v[0:1], v[2:3], off
.LBB4_20:
	s_endpgm
	.section	.rodata,"a",@progbits
	.p2align	6, 0x0
	.amdhsa_kernel _Z15gpu_chebyshev_2idPKiS0_PKdS2_S2_S2_S2_S2_S2_PdS3_S3_S3_di
		.amdhsa_group_segment_fixed_size 0
		.amdhsa_private_segment_fixed_size 0
		.amdhsa_kernarg_size 392
		.amdhsa_user_sgpr_count 6
		.amdhsa_user_sgpr_private_segment_buffer 1
		.amdhsa_user_sgpr_dispatch_ptr 0
		.amdhsa_user_sgpr_queue_ptr 0
		.amdhsa_user_sgpr_kernarg_segment_ptr 1
		.amdhsa_user_sgpr_dispatch_id 0
		.amdhsa_user_sgpr_flat_scratch_init 0
		.amdhsa_user_sgpr_private_segment_size 0
		.amdhsa_uses_dynamic_stack 0
		.amdhsa_system_sgpr_private_segment_wavefront_offset 0
		.amdhsa_system_sgpr_workgroup_id_x 1
		.amdhsa_system_sgpr_workgroup_id_y 0
		.amdhsa_system_sgpr_workgroup_id_z 0
		.amdhsa_system_sgpr_workgroup_info 0
		.amdhsa_system_vgpr_workitem_id 0
		.amdhsa_next_free_vgpr 27
		.amdhsa_next_free_sgpr 29
		.amdhsa_reserve_vcc 1
		.amdhsa_reserve_flat_scratch 0
		.amdhsa_float_round_mode_32 0
		.amdhsa_float_round_mode_16_64 0
		.amdhsa_float_denorm_mode_32 3
		.amdhsa_float_denorm_mode_16_64 3
		.amdhsa_dx10_clamp 1
		.amdhsa_ieee_mode 1
		.amdhsa_fp16_overflow 0
		.amdhsa_exception_fp_ieee_invalid_op 0
		.amdhsa_exception_fp_denorm_src 0
		.amdhsa_exception_fp_ieee_div_zero 0
		.amdhsa_exception_fp_ieee_overflow 0
		.amdhsa_exception_fp_ieee_underflow 0
		.amdhsa_exception_fp_ieee_inexact 0
		.amdhsa_exception_int_div_zero 0
	.end_amdhsa_kernel
	.text
.Lfunc_end4:
	.size	_Z15gpu_chebyshev_2idPKiS0_PKdS2_S2_S2_S2_S2_S2_PdS3_S3_S3_di, .Lfunc_end4-_Z15gpu_chebyshev_2idPKiS0_PKdS2_S2_S2_S2_S2_S2_PdS3_S3_S3_di
                                        ; -- End function
	.set _Z15gpu_chebyshev_2idPKiS0_PKdS2_S2_S2_S2_S2_S2_PdS3_S3_S3_di.num_vgpr, 27
	.set _Z15gpu_chebyshev_2idPKiS0_PKdS2_S2_S2_S2_S2_S2_PdS3_S3_S3_di.num_agpr, 0
	.set _Z15gpu_chebyshev_2idPKiS0_PKdS2_S2_S2_S2_S2_S2_PdS3_S3_S3_di.numbered_sgpr, 29
	.set _Z15gpu_chebyshev_2idPKiS0_PKdS2_S2_S2_S2_S2_S2_PdS3_S3_S3_di.num_named_barrier, 0
	.set _Z15gpu_chebyshev_2idPKiS0_PKdS2_S2_S2_S2_S2_S2_PdS3_S3_S3_di.private_seg_size, 0
	.set _Z15gpu_chebyshev_2idPKiS0_PKdS2_S2_S2_S2_S2_S2_PdS3_S3_S3_di.uses_vcc, 1
	.set _Z15gpu_chebyshev_2idPKiS0_PKdS2_S2_S2_S2_S2_S2_PdS3_S3_S3_di.uses_flat_scratch, 0
	.set _Z15gpu_chebyshev_2idPKiS0_PKdS2_S2_S2_S2_S2_S2_PdS3_S3_S3_di.has_dyn_sized_stack, 0
	.set _Z15gpu_chebyshev_2idPKiS0_PKdS2_S2_S2_S2_S2_S2_PdS3_S3_S3_di.has_recursion, 0
	.set _Z15gpu_chebyshev_2idPKiS0_PKdS2_S2_S2_S2_S2_S2_PdS3_S3_S3_di.has_indirect_call, 0
	.section	.AMDGPU.csdata,"",@progbits
; Kernel info:
; codeLenInByte = 1188
; TotalNumSgprs: 33
; NumVgprs: 27
; ScratchSize: 0
; MemoryBound: 0
; FloatMode: 240
; IeeeMode: 1
; LDSByteSize: 0 bytes/workgroup (compile time only)
; SGPRBlocks: 4
; VGPRBlocks: 6
; NumSGPRsForWavesPerEU: 33
; NumVGPRsForWavesPerEU: 27
; Occupancy: 9
; WaveLimiterHint : 1
; COMPUTE_PGM_RSRC2:SCRATCH_EN: 0
; COMPUTE_PGM_RSRC2:USER_SGPR: 6
; COMPUTE_PGM_RSRC2:TRAP_HANDLER: 0
; COMPUTE_PGM_RSRC2:TGID_X_EN: 1
; COMPUTE_PGM_RSRC2:TGID_Y_EN: 0
; COMPUTE_PGM_RSRC2:TGID_Z_EN: 0
; COMPUTE_PGM_RSRC2:TIDIG_COMP_CNT: 0
	.text
	.protected	_Z16gpu_chebyshev_1xiPKdS0_PdS1_d ; -- Begin function _Z16gpu_chebyshev_1xiPKdS0_PdS1_d
	.globl	_Z16gpu_chebyshev_1xiPKdS0_PdS1_d
	.p2align	8
	.type	_Z16gpu_chebyshev_1xiPKdS0_PdS1_d,@function
_Z16gpu_chebyshev_1xiPKdS0_PdS1_d:      ; @_Z16gpu_chebyshev_1xiPKdS0_PdS1_d
; %bb.0:
	s_load_dword s0, s[4:5], 0x3c
	s_load_dword s1, s[4:5], 0x0
	s_waitcnt lgkmcnt(0)
	s_and_b32 s0, s0, 0xffff
	s_mul_i32 s6, s6, s0
	v_add_u32_e32 v0, s6, v0
	v_cmp_gt_i32_e32 vcc, s1, v0
	s_and_saveexec_b64 s[0:1], vcc
	s_cbranch_execz .LBB5_2
; %bb.1:
	s_load_dwordx8 s[8:15], s[4:5], 0x8
	v_ashrrev_i32_e32 v1, 31, v0
	v_lshlrev_b64 v[0:1], 3, v[0:1]
	s_load_dwordx2 s[0:1], s[4:5], 0x28
	s_waitcnt lgkmcnt(0)
	v_mov_b32_e32 v3, s11
	v_add_co_u32_e32 v2, vcc, s10, v0
	v_addc_co_u32_e32 v3, vcc, v3, v1, vcc
	v_mov_b32_e32 v5, s9
	v_add_co_u32_e32 v4, vcc, s8, v0
	global_load_dwordx2 v[2:3], v[2:3], off
	v_addc_co_u32_e32 v5, vcc, v5, v1, vcc
	global_load_dwordx2 v[4:5], v[4:5], off
	v_mov_b32_e32 v7, s13
	v_add_co_u32_e32 v6, vcc, s12, v0
	v_addc_co_u32_e32 v7, vcc, v7, v1, vcc
	v_mov_b32_e32 v8, s15
	v_add_co_u32_e32 v0, vcc, s14, v0
	v_addc_co_u32_e32 v1, vcc, v8, v1, vcc
	s_waitcnt vmcnt(1)
	v_mul_f64 v[2:3], s[0:1], v[2:3]
	s_waitcnt vmcnt(0)
	v_mul_f64 v[4:5], v[4:5], -s[0:1]
	global_store_dwordx2 v[6:7], v[2:3], off
	global_store_dwordx2 v[0:1], v[4:5], off
.LBB5_2:
	s_endpgm
	.section	.rodata,"a",@progbits
	.p2align	6, 0x0
	.amdhsa_kernel _Z16gpu_chebyshev_1xiPKdS0_PdS1_d
		.amdhsa_group_segment_fixed_size 0
		.amdhsa_private_segment_fixed_size 0
		.amdhsa_kernarg_size 304
		.amdhsa_user_sgpr_count 6
		.amdhsa_user_sgpr_private_segment_buffer 1
		.amdhsa_user_sgpr_dispatch_ptr 0
		.amdhsa_user_sgpr_queue_ptr 0
		.amdhsa_user_sgpr_kernarg_segment_ptr 1
		.amdhsa_user_sgpr_dispatch_id 0
		.amdhsa_user_sgpr_flat_scratch_init 0
		.amdhsa_user_sgpr_private_segment_size 0
		.amdhsa_uses_dynamic_stack 0
		.amdhsa_system_sgpr_private_segment_wavefront_offset 0
		.amdhsa_system_sgpr_workgroup_id_x 1
		.amdhsa_system_sgpr_workgroup_id_y 0
		.amdhsa_system_sgpr_workgroup_id_z 0
		.amdhsa_system_sgpr_workgroup_info 0
		.amdhsa_system_vgpr_workitem_id 0
		.amdhsa_next_free_vgpr 9
		.amdhsa_next_free_sgpr 16
		.amdhsa_reserve_vcc 1
		.amdhsa_reserve_flat_scratch 0
		.amdhsa_float_round_mode_32 0
		.amdhsa_float_round_mode_16_64 0
		.amdhsa_float_denorm_mode_32 3
		.amdhsa_float_denorm_mode_16_64 3
		.amdhsa_dx10_clamp 1
		.amdhsa_ieee_mode 1
		.amdhsa_fp16_overflow 0
		.amdhsa_exception_fp_ieee_invalid_op 0
		.amdhsa_exception_fp_denorm_src 0
		.amdhsa_exception_fp_ieee_div_zero 0
		.amdhsa_exception_fp_ieee_overflow 0
		.amdhsa_exception_fp_ieee_underflow 0
		.amdhsa_exception_fp_ieee_inexact 0
		.amdhsa_exception_int_div_zero 0
	.end_amdhsa_kernel
	.text
.Lfunc_end5:
	.size	_Z16gpu_chebyshev_1xiPKdS0_PdS1_d, .Lfunc_end5-_Z16gpu_chebyshev_1xiPKdS0_PdS1_d
                                        ; -- End function
	.set _Z16gpu_chebyshev_1xiPKdS0_PdS1_d.num_vgpr, 9
	.set _Z16gpu_chebyshev_1xiPKdS0_PdS1_d.num_agpr, 0
	.set _Z16gpu_chebyshev_1xiPKdS0_PdS1_d.numbered_sgpr, 16
	.set _Z16gpu_chebyshev_1xiPKdS0_PdS1_d.num_named_barrier, 0
	.set _Z16gpu_chebyshev_1xiPKdS0_PdS1_d.private_seg_size, 0
	.set _Z16gpu_chebyshev_1xiPKdS0_PdS1_d.uses_vcc, 1
	.set _Z16gpu_chebyshev_1xiPKdS0_PdS1_d.uses_flat_scratch, 0
	.set _Z16gpu_chebyshev_1xiPKdS0_PdS1_d.has_dyn_sized_stack, 0
	.set _Z16gpu_chebyshev_1xiPKdS0_PdS1_d.has_recursion, 0
	.set _Z16gpu_chebyshev_1xiPKdS0_PdS1_d.has_indirect_call, 0
	.section	.AMDGPU.csdata,"",@progbits
; Kernel info:
; codeLenInByte = 188
; TotalNumSgprs: 20
; NumVgprs: 9
; ScratchSize: 0
; MemoryBound: 0
; FloatMode: 240
; IeeeMode: 1
; LDSByteSize: 0 bytes/workgroup (compile time only)
; SGPRBlocks: 2
; VGPRBlocks: 2
; NumSGPRsForWavesPerEU: 20
; NumVGPRsForWavesPerEU: 9
; Occupancy: 10
; WaveLimiterHint : 0
; COMPUTE_PGM_RSRC2:SCRATCH_EN: 0
; COMPUTE_PGM_RSRC2:USER_SGPR: 6
; COMPUTE_PGM_RSRC2:TRAP_HANDLER: 0
; COMPUTE_PGM_RSRC2:TGID_X_EN: 1
; COMPUTE_PGM_RSRC2:TGID_Y_EN: 0
; COMPUTE_PGM_RSRC2:TGID_Z_EN: 0
; COMPUTE_PGM_RSRC2:TIDIG_COMP_CNT: 0
	.text
	.protected	_Z16gpu_chebyshev_2xidPKiS0_PKdS2_S2_S2_S2_S2_S2_S2_S2_S2_S2_S2_PdS3_S3_S3_S3_S3_di ; -- Begin function _Z16gpu_chebyshev_2xidPKiS0_PKdS2_S2_S2_S2_S2_S2_S2_S2_S2_S2_S2_PdS3_S3_S3_S3_S3_di
	.globl	_Z16gpu_chebyshev_2xidPKiS0_PKdS2_S2_S2_S2_S2_S2_S2_S2_S2_S2_S2_PdS3_S3_S3_S3_S3_di
	.p2align	8
	.type	_Z16gpu_chebyshev_2xidPKiS0_PKdS2_S2_S2_S2_S2_S2_S2_S2_S2_S2_S2_PdS3_S3_S3_S3_S3_di,@function
_Z16gpu_chebyshev_2xidPKiS0_PKdS2_S2_S2_S2_S2_S2_S2_S2_S2_S2_S2_PdS3_S3_S3_S3_S3_di: ; @_Z16gpu_chebyshev_2xidPKiS0_PKdS2_S2_S2_S2_S2_S2_S2_S2_S2_S2_S2_PdS3_S3_S3_S3_S3_di
; %bb.0:
	s_load_dword s0, s[4:5], 0xcc
	s_load_dword s33, s[4:5], 0x0
	s_waitcnt lgkmcnt(0)
	s_and_b32 s0, s0, 0xffff
	s_mul_i32 s6, s6, s0
	v_add_u32_e32 v10, s6, v0
	v_cmp_gt_i32_e32 vcc, s33, v10
	s_and_saveexec_b64 s[0:1], vcc
	s_cbranch_execz .LBB6_19
; %bb.1:
	s_load_dwordx2 s[0:1], s[4:5], 0x20
	s_load_dwordx2 s[2:3], s[4:5], 0x10
	s_load_dwordx8 s[24:31], s[4:5], 0x60
	v_ashrrev_i32_e32 v11, 31, v10
	v_lshlrev_b64 v[0:1], 3, v[10:11]
	s_waitcnt lgkmcnt(0)
	v_mov_b32_e32 v3, s1
	v_add_co_u32_e32 v2, vcc, s0, v0
	v_addc_co_u32_e32 v3, vcc, v3, v1, vcc
	global_load_dwordx2 v[6:7], v[2:3], off
	v_mov_b32_e32 v3, s25
	v_add_co_u32_e32 v2, vcc, s24, v0
	v_addc_co_u32_e32 v3, vcc, v3, v1, vcc
	v_mov_b32_e32 v5, s27
	v_add_co_u32_e32 v4, vcc, s26, v0
	v_addc_co_u32_e32 v5, vcc, v5, v1, vcc
	;; [unrolled: 3-line block ×4, first 2 shown]
	global_load_dwordx2 v[2:3], v[2:3], off
	v_mov_b32_e32 v15, s3
	global_load_dwordx2 v[4:5], v[4:5], off
	s_waitcnt vmcnt(1)
	v_mul_f64 v[2:3], v[6:7], v[2:3]
	global_load_dwordx2 v[8:9], v[8:9], off
	s_waitcnt vmcnt(1)
	v_mul_f64 v[4:5], v[6:7], v[4:5]
	global_load_dwordx2 v[13:14], v[12:13], off
	v_lshlrev_b64 v[11:12], 2, v[10:11]
	v_add_co_u32_e32 v11, vcc, s2, v11
	v_addc_co_u32_e32 v12, vcc, v15, v12, vcc
	global_load_dword v12, v[11:12], off
	s_load_dwordx4 s[36:39], s[4:5], 0xa0
	s_load_dwordx8 s[8:15], s[4:5], 0x80
	s_load_dwordx8 s[16:23], s[4:5], 0x40
	s_waitcnt vmcnt(2)
	v_mul_f64 v[8:9], v[6:7], v[8:9]
	s_waitcnt vmcnt(1)
	v_mul_f64 v[6:7], v[6:7], v[13:14]
	s_waitcnt vmcnt(0)
	v_cmp_lt_i32_e32 vcc, 0, v12
	s_and_saveexec_b64 s[2:3], vcc
	s_cbranch_execz .LBB6_5
; %bb.2:
	s_load_dwordx2 s[6:7], s[4:5], 0x18
	s_load_dwordx4 s[40:43], s[4:5], 0x28
	s_load_dwordx2 s[44:45], s[4:5], 0x38
	s_mov_b64 s[34:35], 0
	v_mov_b32_e32 v16, s25
	s_waitcnt lgkmcnt(0)
	v_mov_b32_e32 v13, s7
	v_mov_b32_e32 v14, s41
	;; [unrolled: 1-line block ×7, first 2 shown]
.LBB6_3:                                ; =>This Inner Loop Header: Depth=1
	v_ashrrev_i32_e32 v11, 31, v10
	v_lshlrev_b64 v[21:22], 2, v[10:11]
	v_lshlrev_b64 v[23:24], 3, v[10:11]
	v_add_co_u32_e32 v21, vcc, s6, v21
	v_addc_co_u32_e32 v22, vcc, v13, v22, vcc
	global_load_dword v21, v[21:22], off
	v_add_co_u32_e32 v25, vcc, s40, v23
	v_addc_co_u32_e32 v26, vcc, v14, v24, vcc
	v_add_co_u32_e32 v27, vcc, s42, v23
	v_addc_co_u32_e32 v28, vcc, v15, v24, vcc
	global_load_dwordx2 v[29:30], v[25:26], off
	global_load_dwordx2 v[31:32], v[27:28], off
	v_add_u32_e32 v12, -1, v12
	v_add_u32_e32 v10, s33, v10
	s_waitcnt vmcnt(2)
	v_ashrrev_i32_e32 v22, 31, v21
	v_lshlrev_b64 v[21:22], 3, v[21:22]
	v_add_co_u32_e64 v33, s[0:1], s30, v21
	v_addc_co_u32_e64 v34, s[0:1], v19, v22, s[0:1]
	global_load_dwordx2 v[33:34], v[33:34], off
	v_add_co_u32_e32 v25, vcc, s26, v21
	v_addc_co_u32_e32 v26, vcc, v17, v22, vcc
	v_add_co_u32_e32 v27, vcc, s28, v21
	v_addc_co_u32_e32 v28, vcc, v18, v22, vcc
	global_load_dwordx2 v[27:28], v[27:28], off
	s_nop 0
	global_load_dwordx2 v[25:26], v[25:26], off
	v_add_co_u32_e32 v21, vcc, s24, v21
	v_addc_co_u32_e32 v22, vcc, v16, v22, vcc
	global_load_dwordx2 v[21:22], v[21:22], off
	v_add_co_u32_e32 v23, vcc, s44, v23
	v_addc_co_u32_e32 v24, vcc, v20, v24, vcc
	global_load_dwordx2 v[23:24], v[23:24], off
	v_cmp_eq_u32_e32 vcc, 0, v12
	s_or_b64 s[34:35], vcc, s[34:35]
	s_waitcnt vmcnt(4)
	v_mul_f64 v[35:36], v[31:32], v[33:34]
	v_mul_f64 v[33:34], v[29:30], v[33:34]
	s_waitcnt vmcnt(3)
	v_fma_f64 v[35:36], v[29:30], v[27:28], -v[35:36]
	v_fma_f64 v[27:28], v[31:32], v[27:28], v[33:34]
	s_waitcnt vmcnt(2)
	v_mul_f64 v[33:34], v[31:32], v[25:26]
	v_mul_f64 v[25:26], v[29:30], v[25:26]
	v_add_f64 v[8:9], v[8:9], v[35:36]
	v_add_f64 v[6:7], v[6:7], v[27:28]
	s_waitcnt vmcnt(1)
	v_fma_f64 v[29:30], v[29:30], v[21:22], -v[33:34]
	v_fma_f64 v[21:22], v[31:32], v[21:22], v[25:26]
	v_add_f64 v[2:3], v[2:3], v[29:30]
	v_add_f64 v[4:5], v[4:5], v[21:22]
	s_waitcnt vmcnt(0)
	v_fma_f64 v[8:9], -v[29:30], v[23:24], v[8:9]
	v_fma_f64 v[6:7], -v[21:22], v[23:24], v[6:7]
	s_andn2_b64 exec, exec, s[34:35]
	s_cbranch_execnz .LBB6_3
; %bb.4:
	s_or_b64 exec, exec, s[34:35]
.LBB6_5:
	s_or_b64 exec, exec, s[2:3]
	s_load_dwordx2 s[2:3], s[4:5], 0x8
	s_waitcnt lgkmcnt(0)
	v_mov_b32_e32 v27, s17
	v_mov_b32_e32 v28, s19
	;; [unrolled: 1-line block ×4, first 2 shown]
	v_div_scale_f64 v[10:11], s[0:1], s[2:3], s[2:3], v[2:3]
	v_div_scale_f64 v[14:15], s[0:1], s[2:3], s[2:3], v[4:5]
	v_div_scale_f64 v[18:19], vcc, v[2:3], s[2:3], v[2:3]
	v_rcp_f64_e32 v[12:13], v[10:11]
	v_fma_f64 v[16:17], -v[10:11], v[12:13], 1.0
	v_fma_f64 v[12:13], v[12:13], v[16:17], v[12:13]
	v_rcp_f64_e32 v[16:17], v[14:15]
	v_fma_f64 v[20:21], -v[10:11], v[12:13], 1.0
	v_fma_f64 v[12:13], v[12:13], v[20:21], v[12:13]
	v_div_scale_f64 v[20:21], s[0:1], s[2:3], s[2:3], v[8:9]
	v_fma_f64 v[22:23], -v[14:15], v[16:17], 1.0
	v_add_co_u32_e64 v26, s[0:1], s16, v0
	v_addc_co_u32_e64 v27, s[0:1], v27, v1, s[0:1]
	v_mul_f64 v[24:25], v[18:19], v[12:13]
	global_load_dwordx2 v[26:27], v[26:27], off
	v_fma_f64 v[16:17], v[16:17], v[22:23], v[16:17]
	v_add_co_u32_e64 v22, s[0:1], s18, v0
	v_addc_co_u32_e64 v23, s[0:1], v28, v1, s[0:1]
	v_fma_f64 v[10:11], -v[10:11], v[24:25], v[18:19]
	v_rcp_f64_e32 v[18:19], v[20:21]
	v_div_scale_f64 v[28:29], s[0:1], s[2:3], s[2:3], v[6:7]
	v_div_scale_f64 v[30:31], s[0:1], v[4:5], s[2:3], v[4:5]
	v_fma_f64 v[32:33], -v[14:15], v[16:17], 1.0
	v_div_fmas_f64 v[10:11], v[10:11], v[12:13], v[24:25]
	v_add_co_u32_e32 v12, vcc, s20, v0
	v_addc_co_u32_e32 v13, vcc, v34, v1, vcc
	v_add_co_u32_e32 v24, vcc, s22, v0
	v_addc_co_u32_e32 v25, vcc, v35, v1, vcc
	v_fma_f64 v[34:35], -v[20:21], v[18:19], 1.0
	v_fma_f64 v[16:17], v[16:17], v[32:33], v[16:17]
	v_rcp_f64_e32 v[32:33], v[28:29]
	global_load_dwordx2 v[22:23], v[22:23], off
	s_nop 0
	global_load_dwordx2 v[12:13], v[12:13], off
	s_nop 0
	global_load_dwordx2 v[24:25], v[24:25], off
	s_mov_b64 vcc, s[0:1]
	v_div_fixup_f64 v[2:3], v[10:11], s[2:3], v[2:3]
	v_fma_f64 v[18:19], v[18:19], v[34:35], v[18:19]
	v_mul_f64 v[34:35], v[30:31], v[16:17]
	v_fma_f64 v[14:15], -v[14:15], v[34:35], v[30:31]
	v_fma_f64 v[30:31], -v[28:29], v[32:33], 1.0
	v_div_fmas_f64 v[14:15], v[14:15], v[16:17], v[34:35]
	v_fma_f64 v[30:31], v[32:33], v[30:31], v[32:33]
	v_fma_f64 v[32:33], -v[20:21], v[18:19], 1.0
	v_div_scale_f64 v[16:17], vcc, v[8:9], s[2:3], v[8:9]
	v_fma_f64 v[34:35], -v[28:29], v[30:31], 1.0
	v_fma_f64 v[18:19], v[18:19], v[32:33], v[18:19]
	v_div_scale_f64 v[32:33], s[0:1], v[6:7], s[2:3], v[6:7]
	v_div_fixup_f64 v[4:5], v[14:15], s[2:3], v[4:5]
	v_fma_f64 v[30:31], v[30:31], v[34:35], v[30:31]
	v_mul_f64 v[34:35], v[16:17], v[18:19]
	v_fma_f64 v[16:17], -v[20:21], v[34:35], v[16:17]
	v_mul_f64 v[20:21], v[32:33], v[30:31]
	s_waitcnt vmcnt(3)
	v_fma_f64 v[14:15], v[2:3], 2.0, -v[26:27]
	v_div_fmas_f64 v[16:17], v[16:17], v[18:19], v[34:35]
	v_fma_f64 v[28:29], -v[28:29], v[20:21], v[32:33]
	s_mov_b64 vcc, s[0:1]
	v_div_fmas_f64 v[18:19], v[28:29], v[30:31], v[20:21]
	v_mov_b32_e32 v21, s9
	v_add_co_u32_e32 v20, vcc, s8, v0
	v_addc_co_u32_e32 v21, vcc, v21, v1, vcc
	v_mov_b32_e32 v28, s11
	v_div_fixup_f64 v[8:9], v[16:17], s[2:3], v[8:9]
	v_add_co_u32_e32 v10, vcc, s10, v0
	v_addc_co_u32_e32 v11, vcc, v28, v1, vcc
	s_waitcnt vmcnt(2)
	v_fma_f64 v[16:17], v[4:5], 2.0, -v[22:23]
	v_mov_b32_e32 v29, s13
	v_mov_b32_e32 v30, s15
	s_waitcnt vmcnt(1)
	v_fma_f64 v[2:3], v[8:9], 2.0, -v[12:13]
	v_div_fixup_f64 v[6:7], v[18:19], s[2:3], v[6:7]
	v_add_co_u32_e32 v8, vcc, s12, v0
	v_addc_co_u32_e32 v9, vcc, v29, v1, vcc
	global_store_dwordx2 v[20:21], v[14:15], off
	global_store_dwordx2 v[10:11], v[16:17], off
	global_store_dwordx2 v[8:9], v[2:3], off
	s_mov_b64 s[2:3], -1
	s_waitcnt vmcnt(3)
	v_fma_f64 v[4:5], v[6:7], 2.0, -v[24:25]
	v_add_co_u32_e32 v6, vcc, s14, v0
	v_addc_co_u32_e32 v7, vcc, v30, v1, vcc
	global_store_dwordx2 v[6:7], v[4:5], off
	s_load_dword s6, s[4:5], 0xb8
	s_load_dwordx2 s[0:1], s[4:5], 0xb0
	s_waitcnt lgkmcnt(0)
	s_cmp_lt_i32 s6, 3
	s_cbranch_scc1 .LBB6_13
; %bb.6:
	s_cmp_lt_i32 s6, 4
	s_cbranch_scc1 .LBB6_10
; %bb.7:
	s_cmp_eq_u32 s6, 4
	s_cbranch_scc0 .LBB6_9
; %bb.8:
	v_mov_b32_e32 v7, s37
	v_add_co_u32_e32 v6, vcc, s36, v0
	v_addc_co_u32_e32 v7, vcc, v7, v1, vcc
	v_mov_b32_e32 v11, s39
	v_add_co_u32_e32 v10, vcc, s38, v0
	global_load_dwordx2 v[8:9], v[6:7], off
	v_addc_co_u32_e32 v11, vcc, v11, v1, vcc
	global_load_dwordx2 v[12:13], v[10:11], off
	s_waitcnt vmcnt(1)
	v_fma_f64 v[8:9], -s[0:1], v[4:5], v[8:9]
	s_waitcnt vmcnt(0)
	v_fma_f64 v[12:13], s[0:1], v[2:3], v[12:13]
	global_store_dwordx2 v[6:7], v[8:9], off
	global_store_dwordx2 v[10:11], v[12:13], off
.LBB6_9:
	s_mov_b64 s[2:3], 0
.LBB6_10:
	s_andn2_b64 vcc, exec, s[2:3]
	s_cbranch_vccnz .LBB6_12
; %bb.11:
	v_mov_b32_e32 v7, s37
	v_add_co_u32_e32 v6, vcc, s36, v0
	v_addc_co_u32_e32 v7, vcc, v7, v1, vcc
	v_mov_b32_e32 v11, s39
	v_add_co_u32_e32 v10, vcc, s38, v0
	global_load_dwordx2 v[8:9], v[6:7], off
	v_addc_co_u32_e32 v11, vcc, v11, v1, vcc
	global_load_dwordx2 v[12:13], v[10:11], off
	s_waitcnt vmcnt(1)
	v_fma_f64 v[8:9], s[0:1], v[4:5], v[8:9]
	s_waitcnt vmcnt(0)
	v_fma_f64 v[12:13], -s[0:1], v[2:3], v[12:13]
	global_store_dwordx2 v[6:7], v[8:9], off
	global_store_dwordx2 v[10:11], v[12:13], off
.LBB6_12:
	s_mov_b64 s[2:3], 0
.LBB6_13:
	s_andn2_b64 vcc, exec, s[2:3]
	s_cbranch_vccnz .LBB6_19
; %bb.14:
	s_cmp_gt_i32 s6, 1
	s_mov_b64 s[2:3], -1
	s_cbranch_scc0 .LBB6_16
; %bb.15:
	v_mov_b32_e32 v7, s37
	v_add_co_u32_e32 v6, vcc, s36, v0
	v_addc_co_u32_e32 v7, vcc, v7, v1, vcc
	v_mov_b32_e32 v11, s39
	v_add_co_u32_e32 v10, vcc, s38, v0
	global_load_dwordx2 v[8:9], v[6:7], off
	v_addc_co_u32_e32 v11, vcc, v11, v1, vcc
	global_load_dwordx2 v[12:13], v[10:11], off
	s_mov_b64 s[2:3], 0
	s_waitcnt vmcnt(1)
	v_fma_f64 v[8:9], -s[0:1], v[2:3], v[8:9]
	s_waitcnt vmcnt(0)
	v_fma_f64 v[12:13], -s[0:1], v[4:5], v[12:13]
	global_store_dwordx2 v[6:7], v[8:9], off
	global_store_dwordx2 v[10:11], v[12:13], off
.LBB6_16:
	s_andn2_b64 vcc, exec, s[2:3]
	s_cbranch_vccnz .LBB6_19
; %bb.17:
	s_cmp_eq_u32 s6, 1
	s_cbranch_scc0 .LBB6_19
; %bb.18:
	v_mov_b32_e32 v7, s37
	v_add_co_u32_e32 v6, vcc, s36, v0
	v_addc_co_u32_e32 v7, vcc, v7, v1, vcc
	v_mov_b32_e32 v10, s39
	v_add_co_u32_e32 v0, vcc, s38, v0
	global_load_dwordx2 v[8:9], v[6:7], off
	v_addc_co_u32_e32 v1, vcc, v10, v1, vcc
	global_load_dwordx2 v[10:11], v[0:1], off
	s_waitcnt vmcnt(1)
	v_fma_f64 v[2:3], s[0:1], v[2:3], v[8:9]
	s_waitcnt vmcnt(0)
	v_fma_f64 v[4:5], s[0:1], v[4:5], v[10:11]
	global_store_dwordx2 v[6:7], v[2:3], off
	global_store_dwordx2 v[0:1], v[4:5], off
.LBB6_19:
	s_endpgm
	.section	.rodata,"a",@progbits
	.p2align	6, 0x0
	.amdhsa_kernel _Z16gpu_chebyshev_2xidPKiS0_PKdS2_S2_S2_S2_S2_S2_S2_S2_S2_S2_S2_PdS3_S3_S3_S3_S3_di
		.amdhsa_group_segment_fixed_size 0
		.amdhsa_private_segment_fixed_size 0
		.amdhsa_kernarg_size 448
		.amdhsa_user_sgpr_count 6
		.amdhsa_user_sgpr_private_segment_buffer 1
		.amdhsa_user_sgpr_dispatch_ptr 0
		.amdhsa_user_sgpr_queue_ptr 0
		.amdhsa_user_sgpr_kernarg_segment_ptr 1
		.amdhsa_user_sgpr_dispatch_id 0
		.amdhsa_user_sgpr_flat_scratch_init 0
		.amdhsa_user_sgpr_private_segment_size 0
		.amdhsa_uses_dynamic_stack 0
		.amdhsa_system_sgpr_private_segment_wavefront_offset 0
		.amdhsa_system_sgpr_workgroup_id_x 1
		.amdhsa_system_sgpr_workgroup_id_y 0
		.amdhsa_system_sgpr_workgroup_id_z 0
		.amdhsa_system_sgpr_workgroup_info 0
		.amdhsa_system_vgpr_workitem_id 0
		.amdhsa_next_free_vgpr 37
		.amdhsa_next_free_sgpr 46
		.amdhsa_reserve_vcc 1
		.amdhsa_reserve_flat_scratch 0
		.amdhsa_float_round_mode_32 0
		.amdhsa_float_round_mode_16_64 0
		.amdhsa_float_denorm_mode_32 3
		.amdhsa_float_denorm_mode_16_64 3
		.amdhsa_dx10_clamp 1
		.amdhsa_ieee_mode 1
		.amdhsa_fp16_overflow 0
		.amdhsa_exception_fp_ieee_invalid_op 0
		.amdhsa_exception_fp_denorm_src 0
		.amdhsa_exception_fp_ieee_div_zero 0
		.amdhsa_exception_fp_ieee_overflow 0
		.amdhsa_exception_fp_ieee_underflow 0
		.amdhsa_exception_fp_ieee_inexact 0
		.amdhsa_exception_int_div_zero 0
	.end_amdhsa_kernel
	.text
.Lfunc_end6:
	.size	_Z16gpu_chebyshev_2xidPKiS0_PKdS2_S2_S2_S2_S2_S2_S2_S2_S2_S2_S2_PdS3_S3_S3_S3_S3_di, .Lfunc_end6-_Z16gpu_chebyshev_2xidPKiS0_PKdS2_S2_S2_S2_S2_S2_S2_S2_S2_S2_S2_PdS3_S3_S3_S3_S3_di
                                        ; -- End function
	.set _Z16gpu_chebyshev_2xidPKiS0_PKdS2_S2_S2_S2_S2_S2_S2_S2_S2_S2_S2_PdS3_S3_S3_S3_S3_di.num_vgpr, 37
	.set _Z16gpu_chebyshev_2xidPKiS0_PKdS2_S2_S2_S2_S2_S2_S2_S2_S2_S2_S2_PdS3_S3_S3_S3_S3_di.num_agpr, 0
	.set _Z16gpu_chebyshev_2xidPKiS0_PKdS2_S2_S2_S2_S2_S2_S2_S2_S2_S2_S2_PdS3_S3_S3_S3_S3_di.numbered_sgpr, 46
	.set _Z16gpu_chebyshev_2xidPKiS0_PKdS2_S2_S2_S2_S2_S2_S2_S2_S2_S2_S2_PdS3_S3_S3_S3_S3_di.num_named_barrier, 0
	.set _Z16gpu_chebyshev_2xidPKiS0_PKdS2_S2_S2_S2_S2_S2_S2_S2_S2_S2_S2_PdS3_S3_S3_S3_S3_di.private_seg_size, 0
	.set _Z16gpu_chebyshev_2xidPKiS0_PKdS2_S2_S2_S2_S2_S2_S2_S2_S2_S2_S2_PdS3_S3_S3_S3_S3_di.uses_vcc, 1
	.set _Z16gpu_chebyshev_2xidPKiS0_PKdS2_S2_S2_S2_S2_S2_S2_S2_S2_S2_S2_PdS3_S3_S3_S3_S3_di.uses_flat_scratch, 0
	.set _Z16gpu_chebyshev_2xidPKiS0_PKdS2_S2_S2_S2_S2_S2_S2_S2_S2_S2_S2_PdS3_S3_S3_S3_S3_di.has_dyn_sized_stack, 0
	.set _Z16gpu_chebyshev_2xidPKiS0_PKdS2_S2_S2_S2_S2_S2_S2_S2_S2_S2_S2_PdS3_S3_S3_S3_S3_di.has_recursion, 0
	.set _Z16gpu_chebyshev_2xidPKiS0_PKdS2_S2_S2_S2_S2_S2_S2_S2_S2_S2_S2_PdS3_S3_S3_S3_S3_di.has_indirect_call, 0
	.section	.AMDGPU.csdata,"",@progbits
; Kernel info:
; codeLenInByte = 1724
; TotalNumSgprs: 50
; NumVgprs: 37
; ScratchSize: 0
; MemoryBound: 0
; FloatMode: 240
; IeeeMode: 1
; LDSByteSize: 0 bytes/workgroup (compile time only)
; SGPRBlocks: 6
; VGPRBlocks: 9
; NumSGPRsForWavesPerEU: 50
; NumVGPRsForWavesPerEU: 37
; Occupancy: 6
; WaveLimiterHint : 1
; COMPUTE_PGM_RSRC2:SCRATCH_EN: 0
; COMPUTE_PGM_RSRC2:USER_SGPR: 6
; COMPUTE_PGM_RSRC2:TRAP_HANDLER: 0
; COMPUTE_PGM_RSRC2:TGID_X_EN: 1
; COMPUTE_PGM_RSRC2:TGID_Y_EN: 0
; COMPUTE_PGM_RSRC2:TGID_Z_EN: 0
; COMPUTE_PGM_RSRC2:TIDIG_COMP_CNT: 0
	.text
	.protected	_Z21gpu_kernel_polynomialidPKiS0_PKdS2_S2_S2_S2_S2_S2_PdS3_ ; -- Begin function _Z21gpu_kernel_polynomialidPKiS0_PKdS2_S2_S2_S2_S2_S2_PdS3_
	.globl	_Z21gpu_kernel_polynomialidPKiS0_PKdS2_S2_S2_S2_S2_S2_PdS3_
	.p2align	8
	.type	_Z21gpu_kernel_polynomialidPKiS0_PKdS2_S2_S2_S2_S2_S2_PdS3_,@function
_Z21gpu_kernel_polynomialidPKiS0_PKdS2_S2_S2_S2_S2_S2_PdS3_: ; @_Z21gpu_kernel_polynomialidPKiS0_PKdS2_S2_S2_S2_S2_S2_PdS3_
; %bb.0:
	s_load_dword s0, s[4:5], 0x74
	s_load_dword s24, s[4:5], 0x0
	s_waitcnt lgkmcnt(0)
	s_and_b32 s0, s0, 0xffff
	s_mul_i32 s6, s6, s0
	v_add_u32_e32 v6, s6, v0
	v_cmp_gt_i32_e32 vcc, s24, v6
	s_and_saveexec_b64 s[0:1], vcc
	s_cbranch_execz .LBB7_6
; %bb.1:
	s_load_dwordx2 s[0:1], s[4:5], 0x20
	s_load_dwordx2 s[2:3], s[4:5], 0x10
	s_load_dwordx8 s[8:15], s[4:5], 0x38
	v_ashrrev_i32_e32 v7, 31, v6
	v_lshlrev_b64 v[0:1], 3, v[6:7]
	s_waitcnt lgkmcnt(0)
	v_mov_b32_e32 v3, s1
	v_add_co_u32_e32 v2, vcc, s0, v0
	v_addc_co_u32_e32 v3, vcc, v3, v1, vcc
	global_load_dwordx2 v[4:5], v[2:3], off
	v_mov_b32_e32 v3, s13
	v_add_co_u32_e32 v2, vcc, s12, v0
	v_addc_co_u32_e32 v3, vcc, v3, v1, vcc
	v_mov_b32_e32 v9, s15
	v_add_co_u32_e32 v8, vcc, s14, v0
	v_addc_co_u32_e32 v9, vcc, v9, v1, vcc
	global_load_dwordx2 v[2:3], v[2:3], off
	v_mov_b32_e32 v11, s3
	global_load_dwordx2 v[9:10], v[8:9], off
	v_lshlrev_b64 v[7:8], 2, v[6:7]
	s_load_dwordx4 s[16:19], s[4:5], 0x58
	v_add_co_u32_e32 v7, vcc, s2, v7
	v_addc_co_u32_e32 v8, vcc, v11, v8, vcc
	global_load_dword v8, v[7:8], off
	s_waitcnt vmcnt(2)
	v_mul_f64 v[2:3], v[4:5], v[2:3]
	s_waitcnt vmcnt(1)
	v_mul_f64 v[4:5], v[4:5], v[9:10]
	s_waitcnt vmcnt(0)
	v_cmp_lt_i32_e32 vcc, 0, v8
	s_and_saveexec_b64 s[6:7], vcc
	s_cbranch_execz .LBB7_5
; %bb.2:
	s_load_dwordx2 s[20:21], s[4:5], 0x18
	s_load_dwordx4 s[0:3], s[4:5], 0x28
	s_mov_b64 s[22:23], 0
	v_mov_b32_e32 v12, s13
	v_mov_b32_e32 v13, s15
	s_waitcnt lgkmcnt(0)
	v_mov_b32_e32 v9, s21
	v_mov_b32_e32 v10, s1
	;; [unrolled: 1-line block ×3, first 2 shown]
.LBB7_3:                                ; =>This Inner Loop Header: Depth=1
	v_ashrrev_i32_e32 v7, 31, v6
	v_lshlrev_b64 v[14:15], 2, v[6:7]
	v_add_u32_e32 v8, -1, v8
	v_add_co_u32_e32 v14, vcc, s20, v14
	v_addc_co_u32_e32 v15, vcc, v9, v15, vcc
	global_load_dword v14, v[14:15], off
	v_lshlrev_b64 v[15:16], 3, v[6:7]
	v_add_u32_e32 v6, s24, v6
	v_add_co_u32_e32 v17, vcc, s0, v15
	v_addc_co_u32_e32 v18, vcc, v10, v16, vcc
	v_add_co_u32_e32 v15, vcc, s2, v15
	v_addc_co_u32_e32 v16, vcc, v11, v16, vcc
	global_load_dwordx2 v[19:20], v[15:16], off
	s_waitcnt vmcnt(1)
	v_ashrrev_i32_e32 v15, 31, v14
	v_lshlrev_b64 v[14:15], 3, v[14:15]
	v_add_co_u32_e32 v21, vcc, s14, v14
	v_addc_co_u32_e32 v22, vcc, v13, v15, vcc
	global_load_dwordx2 v[23:24], v[21:22], off
	global_load_dwordx2 v[25:26], v[17:18], off
	v_add_co_u32_e32 v14, vcc, s12, v14
	v_addc_co_u32_e32 v15, vcc, v12, v15, vcc
	global_load_dwordx2 v[14:15], v[14:15], off
	v_cmp_eq_u32_e32 vcc, 0, v8
	s_or_b64 s[22:23], vcc, s[22:23]
	s_waitcnt vmcnt(2)
	v_mul_f64 v[16:17], v[19:20], v[23:24]
	s_waitcnt vmcnt(1)
	v_mul_f64 v[21:22], v[25:26], v[23:24]
	s_waitcnt vmcnt(0)
	v_fma_f64 v[16:17], v[25:26], v[14:15], -v[16:17]
	v_fma_f64 v[14:15], v[19:20], v[14:15], v[21:22]
	v_add_f64 v[2:3], v[2:3], v[16:17]
	v_add_f64 v[4:5], v[4:5], v[14:15]
	s_andn2_b64 exec, exec, s[22:23]
	s_cbranch_execnz .LBB7_3
; %bb.4:
	s_or_b64 exec, exec, s[22:23]
.LBB7_5:
	s_or_b64 exec, exec, s[6:7]
	s_load_dwordx2 s[2:3], s[4:5], 0x8
	v_mov_b32_e32 v15, s9
	v_add_co_u32_e32 v14, vcc, s8, v0
	v_addc_co_u32_e32 v15, vcc, v15, v1, vcc
	s_waitcnt lgkmcnt(0)
	v_div_scale_f64 v[6:7], s[0:1], s[2:3], s[2:3], v[2:3]
	v_div_scale_f64 v[8:9], s[0:1], s[2:3], s[2:3], v[4:5]
	v_mov_b32_e32 v19, s11
	v_add_co_u32_e32 v18, vcc, s10, v0
	v_addc_co_u32_e32 v19, vcc, v19, v1, vcc
	global_load_dwordx2 v[14:15], v[14:15], off
	v_rcp_f64_e32 v[10:11], v[6:7]
	global_load_dwordx2 v[18:19], v[18:19], off
	v_rcp_f64_e32 v[12:13], v[8:9]
	v_fma_f64 v[16:17], -v[6:7], v[10:11], 1.0
	v_fma_f64 v[20:21], -v[8:9], v[12:13], 1.0
	v_fma_f64 v[10:11], v[10:11], v[16:17], v[10:11]
	v_fma_f64 v[12:13], v[12:13], v[20:21], v[12:13]
	v_div_scale_f64 v[20:21], vcc, v[2:3], s[2:3], v[2:3]
	v_fma_f64 v[16:17], -v[6:7], v[10:11], 1.0
	v_fma_f64 v[22:23], -v[8:9], v[12:13], 1.0
	v_fma_f64 v[10:11], v[10:11], v[16:17], v[10:11]
	v_div_scale_f64 v[16:17], s[0:1], v[4:5], s[2:3], v[4:5]
	v_fma_f64 v[12:13], v[12:13], v[22:23], v[12:13]
	v_mul_f64 v[22:23], v[20:21], v[10:11]
	v_fma_f64 v[6:7], -v[6:7], v[22:23], v[20:21]
	v_mul_f64 v[20:21], v[16:17], v[12:13]
	v_div_fmas_f64 v[6:7], v[6:7], v[10:11], v[22:23]
	v_fma_f64 v[8:9], -v[8:9], v[20:21], v[16:17]
	s_mov_b64 vcc, s[0:1]
	v_div_fmas_f64 v[8:9], v[8:9], v[12:13], v[20:21]
	v_div_fixup_f64 v[2:3], v[6:7], s[2:3], v[2:3]
	v_mov_b32_e32 v7, s17
	v_add_co_u32_e32 v6, vcc, s16, v0
	v_addc_co_u32_e32 v7, vcc, v7, v1, vcc
	v_add_co_u32_e32 v0, vcc, s18, v0
	s_waitcnt vmcnt(1)
	v_fma_f64 v[2:3], v[2:3], 2.0, -v[14:15]
	v_div_fixup_f64 v[4:5], v[8:9], s[2:3], v[4:5]
	v_mov_b32_e32 v8, s19
	v_addc_co_u32_e32 v1, vcc, v8, v1, vcc
	global_store_dwordx2 v[6:7], v[2:3], off
	s_waitcnt vmcnt(1)
	v_fma_f64 v[4:5], v[4:5], 2.0, -v[18:19]
	global_store_dwordx2 v[0:1], v[4:5], off
.LBB7_6:
	s_endpgm
	.section	.rodata,"a",@progbits
	.p2align	6, 0x0
	.amdhsa_kernel _Z21gpu_kernel_polynomialidPKiS0_PKdS2_S2_S2_S2_S2_S2_PdS3_
		.amdhsa_group_segment_fixed_size 0
		.amdhsa_private_segment_fixed_size 0
		.amdhsa_kernarg_size 360
		.amdhsa_user_sgpr_count 6
		.amdhsa_user_sgpr_private_segment_buffer 1
		.amdhsa_user_sgpr_dispatch_ptr 0
		.amdhsa_user_sgpr_queue_ptr 0
		.amdhsa_user_sgpr_kernarg_segment_ptr 1
		.amdhsa_user_sgpr_dispatch_id 0
		.amdhsa_user_sgpr_flat_scratch_init 0
		.amdhsa_user_sgpr_private_segment_size 0
		.amdhsa_uses_dynamic_stack 0
		.amdhsa_system_sgpr_private_segment_wavefront_offset 0
		.amdhsa_system_sgpr_workgroup_id_x 1
		.amdhsa_system_sgpr_workgroup_id_y 0
		.amdhsa_system_sgpr_workgroup_id_z 0
		.amdhsa_system_sgpr_workgroup_info 0
		.amdhsa_system_vgpr_workitem_id 0
		.amdhsa_next_free_vgpr 27
		.amdhsa_next_free_sgpr 25
		.amdhsa_reserve_vcc 1
		.amdhsa_reserve_flat_scratch 0
		.amdhsa_float_round_mode_32 0
		.amdhsa_float_round_mode_16_64 0
		.amdhsa_float_denorm_mode_32 3
		.amdhsa_float_denorm_mode_16_64 3
		.amdhsa_dx10_clamp 1
		.amdhsa_ieee_mode 1
		.amdhsa_fp16_overflow 0
		.amdhsa_exception_fp_ieee_invalid_op 0
		.amdhsa_exception_fp_denorm_src 0
		.amdhsa_exception_fp_ieee_div_zero 0
		.amdhsa_exception_fp_ieee_overflow 0
		.amdhsa_exception_fp_ieee_underflow 0
		.amdhsa_exception_fp_ieee_inexact 0
		.amdhsa_exception_int_div_zero 0
	.end_amdhsa_kernel
	.text
.Lfunc_end7:
	.size	_Z21gpu_kernel_polynomialidPKiS0_PKdS2_S2_S2_S2_S2_S2_PdS3_, .Lfunc_end7-_Z21gpu_kernel_polynomialidPKiS0_PKdS2_S2_S2_S2_S2_S2_PdS3_
                                        ; -- End function
	.set _Z21gpu_kernel_polynomialidPKiS0_PKdS2_S2_S2_S2_S2_S2_PdS3_.num_vgpr, 27
	.set _Z21gpu_kernel_polynomialidPKiS0_PKdS2_S2_S2_S2_S2_S2_PdS3_.num_agpr, 0
	.set _Z21gpu_kernel_polynomialidPKiS0_PKdS2_S2_S2_S2_S2_S2_PdS3_.numbered_sgpr, 25
	.set _Z21gpu_kernel_polynomialidPKiS0_PKdS2_S2_S2_S2_S2_S2_PdS3_.num_named_barrier, 0
	.set _Z21gpu_kernel_polynomialidPKiS0_PKdS2_S2_S2_S2_S2_S2_PdS3_.private_seg_size, 0
	.set _Z21gpu_kernel_polynomialidPKiS0_PKdS2_S2_S2_S2_S2_S2_PdS3_.uses_vcc, 1
	.set _Z21gpu_kernel_polynomialidPKiS0_PKdS2_S2_S2_S2_S2_S2_PdS3_.uses_flat_scratch, 0
	.set _Z21gpu_kernel_polynomialidPKiS0_PKdS2_S2_S2_S2_S2_S2_PdS3_.has_dyn_sized_stack, 0
	.set _Z21gpu_kernel_polynomialidPKiS0_PKdS2_S2_S2_S2_S2_S2_PdS3_.has_recursion, 0
	.set _Z21gpu_kernel_polynomialidPKiS0_PKdS2_S2_S2_S2_S2_S2_PdS3_.has_indirect_call, 0
	.section	.AMDGPU.csdata,"",@progbits
; Kernel info:
; codeLenInByte = 768
; TotalNumSgprs: 29
; NumVgprs: 27
; ScratchSize: 0
; MemoryBound: 0
; FloatMode: 240
; IeeeMode: 1
; LDSByteSize: 0 bytes/workgroup (compile time only)
; SGPRBlocks: 3
; VGPRBlocks: 6
; NumSGPRsForWavesPerEU: 29
; NumVGPRsForWavesPerEU: 27
; Occupancy: 9
; WaveLimiterHint : 1
; COMPUTE_PGM_RSRC2:SCRATCH_EN: 0
; COMPUTE_PGM_RSRC2:USER_SGPR: 6
; COMPUTE_PGM_RSRC2:TRAP_HANDLER: 0
; COMPUTE_PGM_RSRC2:TGID_X_EN: 1
; COMPUTE_PGM_RSRC2:TGID_Y_EN: 0
; COMPUTE_PGM_RSRC2:TGID_Z_EN: 0
; COMPUTE_PGM_RSRC2:TIDIG_COMP_CNT: 0
	.section	.AMDGPU.gpr_maximums,"",@progbits
	.set amdgpu.max_num_vgpr, 0
	.set amdgpu.max_num_agpr, 0
	.set amdgpu.max_num_sgpr, 0
	.section	.AMDGPU.csdata,"",@progbits
	.type	__hip_cuid_c3b1994223fdc682,@object ; @__hip_cuid_c3b1994223fdc682
	.section	.bss,"aw",@nobits
	.globl	__hip_cuid_c3b1994223fdc682
__hip_cuid_c3b1994223fdc682:
	.byte	0                               ; 0x0
	.size	__hip_cuid_c3b1994223fdc682, 1

	.ident	"AMD clang version 22.0.0git (https://github.com/RadeonOpenCompute/llvm-project roc-7.2.4 26084 f58b06dce1f9c15707c5f808fd002e18c2accf7e)"
	.section	".note.GNU-stack","",@progbits
	.addrsig
	.addrsig_sym __hip_cuid_c3b1994223fdc682
	.amdgpu_metadata
---
amdhsa.kernels:
  - .args:
      - .offset:         0
        .size:           4
        .value_kind:     by_value
      - .offset:         8
        .size:           8
        .value_kind:     by_value
      - .actual_access:  read_only
        .address_space:  global
        .offset:         16
        .size:           8
        .value_kind:     global_buffer
      - .actual_access:  read_only
        .address_space:  global
        .offset:         24
        .size:           8
        .value_kind:     global_buffer
      - .actual_access:  read_only
        .address_space:  global
        .offset:         32
        .size:           8
        .value_kind:     global_buffer
      - .actual_access:  read_only
        .address_space:  global
        .offset:         40
        .size:           8
        .value_kind:     global_buffer
      - .actual_access:  read_only
        .address_space:  global
        .offset:         48
        .size:           8
        .value_kind:     global_buffer
      - .actual_access:  read_only
        .address_space:  global
        .offset:         56
        .size:           8
        .value_kind:     global_buffer
      - .actual_access:  read_only
        .address_space:  global
        .offset:         64
        .size:           8
        .value_kind:     global_buffer
      - .actual_access:  write_only
        .address_space:  global
        .offset:         72
        .size:           8
        .value_kind:     global_buffer
      - .actual_access:  write_only
        .address_space:  global
        .offset:         80
        .size:           8
        .value_kind:     global_buffer
      - .offset:         88
        .size:           4
        .value_kind:     hidden_block_count_x
      - .offset:         92
        .size:           4
        .value_kind:     hidden_block_count_y
      - .offset:         96
        .size:           4
        .value_kind:     hidden_block_count_z
      - .offset:         100
        .size:           2
        .value_kind:     hidden_group_size_x
      - .offset:         102
        .size:           2
        .value_kind:     hidden_group_size_y
      - .offset:         104
        .size:           2
        .value_kind:     hidden_group_size_z
      - .offset:         106
        .size:           2
        .value_kind:     hidden_remainder_x
      - .offset:         108
        .size:           2
        .value_kind:     hidden_remainder_y
      - .offset:         110
        .size:           2
        .value_kind:     hidden_remainder_z
      - .offset:         128
        .size:           8
        .value_kind:     hidden_global_offset_x
      - .offset:         136
        .size:           8
        .value_kind:     hidden_global_offset_y
      - .offset:         144
        .size:           8
        .value_kind:     hidden_global_offset_z
      - .offset:         152
        .size:           2
        .value_kind:     hidden_grid_dims
    .group_segment_fixed_size: 0
    .kernarg_segment_align: 8
    .kernarg_segment_size: 344
    .language:       OpenCL C
    .language_version:
      - 2
      - 0
    .max_flat_workgroup_size: 1024
    .name:           _Z21gpu_apply_hamiltonianidPKiS0_PKdS2_S2_S2_S2_PdS3_
    .private_segment_fixed_size: 0
    .sgpr_count:     25
    .sgpr_spill_count: 0
    .symbol:         _Z21gpu_apply_hamiltonianidPKiS0_PKdS2_S2_S2_S2_PdS3_.kd
    .uniform_work_group_size: 1
    .uses_dynamic_stack: false
    .vgpr_count:     27
    .vgpr_spill_count: 0
    .wavefront_size: 64
  - .args:
      - .offset:         0
        .size:           4
        .value_kind:     by_value
      - .offset:         8
        .size:           8
        .value_kind:     by_value
      - .address_space:  global
        .offset:         16
        .size:           8
        .value_kind:     global_buffer
      - .address_space:  global
        .offset:         24
        .size:           8
        .value_kind:     global_buffer
      - .address_space:  global
        .offset:         32
        .size:           8
        .value_kind:     global_buffer
      - .address_space:  global
        .offset:         40
        .size:           8
        .value_kind:     global_buffer
      - .address_space:  global
        .offset:         48
        .size:           8
        .value_kind:     global_buffer
      - .address_space:  global
        .offset:         56
        .size:           8
        .value_kind:     global_buffer
      - .address_space:  global
        .offset:         64
        .size:           8
        .value_kind:     global_buffer
      - .address_space:  global
        .offset:         72
        .size:           8
        .value_kind:     global_buffer
      - .address_space:  global
        .offset:         80
        .size:           8
        .value_kind:     global_buffer
      - .offset:         88
        .size:           4
        .value_kind:     hidden_block_count_x
      - .offset:         92
        .size:           4
        .value_kind:     hidden_block_count_y
      - .offset:         96
        .size:           4
        .value_kind:     hidden_block_count_z
      - .offset:         100
        .size:           2
        .value_kind:     hidden_group_size_x
      - .offset:         102
        .size:           2
        .value_kind:     hidden_group_size_y
      - .offset:         104
        .size:           2
        .value_kind:     hidden_group_size_z
      - .offset:         106
        .size:           2
        .value_kind:     hidden_remainder_x
      - .offset:         108
        .size:           2
        .value_kind:     hidden_remainder_y
      - .offset:         110
        .size:           2
        .value_kind:     hidden_remainder_z
      - .offset:         128
        .size:           8
        .value_kind:     hidden_global_offset_x
      - .offset:         136
        .size:           8
        .value_kind:     hidden_global_offset_y
      - .offset:         144
        .size:           8
        .value_kind:     hidden_global_offset_z
      - .offset:         152
        .size:           2
        .value_kind:     hidden_grid_dims
    .group_segment_fixed_size: 0
    .kernarg_segment_align: 8
    .kernarg_segment_size: 344
    .language:       OpenCL C
    .language_version:
      - 2
      - 0
    .max_flat_workgroup_size: 1024
    .name:           _Z20gpu_apply_commutatoridPiS_PdS0_S0_S0_S0_S0_S0_
    .private_segment_fixed_size: 0
    .sgpr_count:     28
    .sgpr_spill_count: 0
    .symbol:         _Z20gpu_apply_commutatoridPiS_PdS0_S0_S0_S0_S0_S0_.kd
    .uniform_work_group_size: 1
    .uses_dynamic_stack: false
    .vgpr_count:     34
    .vgpr_spill_count: 0
    .wavefront_size: 64
  - .args:
      - .offset:         0
        .size:           4
        .value_kind:     by_value
      - .actual_access:  read_only
        .address_space:  global
        .offset:         8
        .size:           8
        .value_kind:     global_buffer
      - .actual_access:  read_only
        .address_space:  global
        .offset:         16
        .size:           8
        .value_kind:     global_buffer
      - .actual_access:  read_only
        .address_space:  global
        .offset:         24
        .size:           8
        .value_kind:     global_buffer
      - .actual_access:  read_only
        .address_space:  global
        .offset:         32
        .size:           8
        .value_kind:     global_buffer
      - .actual_access:  read_only
        .address_space:  global
        .offset:         40
        .size:           8
        .value_kind:     global_buffer
      - .actual_access:  read_only
        .address_space:  global
        .offset:         48
        .size:           8
        .value_kind:     global_buffer
      - .actual_access:  read_only
        .address_space:  global
        .offset:         56
        .size:           8
        .value_kind:     global_buffer
      - .actual_access:  write_only
        .address_space:  global
        .offset:         64
        .size:           8
        .value_kind:     global_buffer
      - .actual_access:  write_only
        .address_space:  global
        .offset:         72
        .size:           8
        .value_kind:     global_buffer
      - .offset:         80
        .size:           4
        .value_kind:     hidden_block_count_x
      - .offset:         84
        .size:           4
        .value_kind:     hidden_block_count_y
      - .offset:         88
        .size:           4
        .value_kind:     hidden_block_count_z
      - .offset:         92
        .size:           2
        .value_kind:     hidden_group_size_x
      - .offset:         94
        .size:           2
        .value_kind:     hidden_group_size_y
      - .offset:         96
        .size:           2
        .value_kind:     hidden_group_size_z
      - .offset:         98
        .size:           2
        .value_kind:     hidden_remainder_x
      - .offset:         100
        .size:           2
        .value_kind:     hidden_remainder_y
      - .offset:         102
        .size:           2
        .value_kind:     hidden_remainder_z
      - .offset:         120
        .size:           8
        .value_kind:     hidden_global_offset_x
      - .offset:         128
        .size:           8
        .value_kind:     hidden_global_offset_y
      - .offset:         136
        .size:           8
        .value_kind:     hidden_global_offset_z
      - .offset:         144
        .size:           2
        .value_kind:     hidden_grid_dims
    .group_segment_fixed_size: 0
    .kernarg_segment_align: 8
    .kernarg_segment_size: 336
    .language:       OpenCL C
    .language_version:
      - 2
      - 0
    .max_flat_workgroup_size: 1024
    .name:           _Z17gpu_apply_currentiPKiS0_PKdS2_S2_S2_S2_PdS3_
    .private_segment_fixed_size: 0
    .sgpr_count:     25
    .sgpr_spill_count: 0
    .symbol:         _Z17gpu_apply_currentiPKiS0_PKdS2_S2_S2_S2_PdS3_.kd
    .uniform_work_group_size: 1
    .uses_dynamic_stack: false
    .vgpr_count:     34
    .vgpr_spill_count: 0
    .wavefront_size: 64
  - .args:
      - .offset:         0
        .size:           4
        .value_kind:     by_value
      - .actual_access:  read_only
        .address_space:  global
        .offset:         8
        .size:           8
        .value_kind:     global_buffer
      - .actual_access:  read_only
        .address_space:  global
        .offset:         16
        .size:           8
        .value_kind:     global_buffer
      - .actual_access:  read_only
        .address_space:  global
        .offset:         24
        .size:           8
        .value_kind:     global_buffer
      - .actual_access:  read_only
        .address_space:  global
        .offset:         32
        .size:           8
        .value_kind:     global_buffer
      - .actual_access:  write_only
        .address_space:  global
        .offset:         40
        .size:           8
        .value_kind:     global_buffer
      - .actual_access:  write_only
        .address_space:  global
        .offset:         48
        .size:           8
        .value_kind:     global_buffer
      - .offset:         56
        .size:           8
        .value_kind:     by_value
      - .offset:         64
        .size:           8
        .value_kind:     by_value
      - .offset:         72
        .size:           4
        .value_kind:     by_value
      - .offset:         80
        .size:           4
        .value_kind:     hidden_block_count_x
      - .offset:         84
        .size:           4
        .value_kind:     hidden_block_count_y
      - .offset:         88
        .size:           4
        .value_kind:     hidden_block_count_z
      - .offset:         92
        .size:           2
        .value_kind:     hidden_group_size_x
      - .offset:         94
        .size:           2
        .value_kind:     hidden_group_size_y
      - .offset:         96
        .size:           2
        .value_kind:     hidden_group_size_z
      - .offset:         98
        .size:           2
        .value_kind:     hidden_remainder_x
      - .offset:         100
        .size:           2
        .value_kind:     hidden_remainder_y
      - .offset:         102
        .size:           2
        .value_kind:     hidden_remainder_z
      - .offset:         120
        .size:           8
        .value_kind:     hidden_global_offset_x
      - .offset:         128
        .size:           8
        .value_kind:     hidden_global_offset_y
      - .offset:         136
        .size:           8
        .value_kind:     hidden_global_offset_z
      - .offset:         144
        .size:           2
        .value_kind:     hidden_grid_dims
    .group_segment_fixed_size: 0
    .kernarg_segment_align: 8
    .kernarg_segment_size: 336
    .language:       OpenCL C
    .language_version:
      - 2
      - 0
    .max_flat_workgroup_size: 1024
    .name:           _Z16gpu_chebyshev_01iPKdS0_S0_S0_PdS1_ddi
    .private_segment_fixed_size: 0
    .sgpr_count:     20
    .sgpr_spill_count: 0
    .symbol:         _Z16gpu_chebyshev_01iPKdS0_S0_S0_PdS1_ddi.kd
    .uniform_work_group_size: 1
    .uses_dynamic_stack: false
    .vgpr_count:     12
    .vgpr_spill_count: 0
    .wavefront_size: 64
  - .args:
      - .offset:         0
        .size:           4
        .value_kind:     by_value
      - .offset:         8
        .size:           8
        .value_kind:     by_value
      - .actual_access:  read_only
        .address_space:  global
        .offset:         16
        .size:           8
        .value_kind:     global_buffer
      - .actual_access:  read_only
        .address_space:  global
        .offset:         24
        .size:           8
        .value_kind:     global_buffer
      - .actual_access:  read_only
        .address_space:  global
        .offset:         32
        .size:           8
        .value_kind:     global_buffer
      - .actual_access:  read_only
        .address_space:  global
        .offset:         40
        .size:           8
        .value_kind:     global_buffer
      - .actual_access:  read_only
        .address_space:  global
        .offset:         48
        .size:           8
        .value_kind:     global_buffer
      - .actual_access:  read_only
        .address_space:  global
        .offset:         56
        .size:           8
        .value_kind:     global_buffer
      - .actual_access:  read_only
        .address_space:  global
        .offset:         64
        .size:           8
        .value_kind:     global_buffer
      - .actual_access:  read_only
        .address_space:  global
        .offset:         72
        .size:           8
        .value_kind:     global_buffer
      - .actual_access:  read_only
        .address_space:  global
        .offset:         80
        .size:           8
        .value_kind:     global_buffer
      - .actual_access:  write_only
        .address_space:  global
        .offset:         88
        .size:           8
        .value_kind:     global_buffer
      - .actual_access:  write_only
        .address_space:  global
        .offset:         96
        .size:           8
        .value_kind:     global_buffer
      - .address_space:  global
        .offset:         104
        .size:           8
        .value_kind:     global_buffer
      - .address_space:  global
        .offset:         112
        .size:           8
        .value_kind:     global_buffer
      - .offset:         120
        .size:           8
        .value_kind:     by_value
      - .offset:         128
        .size:           4
        .value_kind:     by_value
      - .offset:         136
        .size:           4
        .value_kind:     hidden_block_count_x
      - .offset:         140
        .size:           4
        .value_kind:     hidden_block_count_y
      - .offset:         144
        .size:           4
        .value_kind:     hidden_block_count_z
      - .offset:         148
        .size:           2
        .value_kind:     hidden_group_size_x
      - .offset:         150
        .size:           2
        .value_kind:     hidden_group_size_y
      - .offset:         152
        .size:           2
        .value_kind:     hidden_group_size_z
      - .offset:         154
        .size:           2
        .value_kind:     hidden_remainder_x
      - .offset:         156
        .size:           2
        .value_kind:     hidden_remainder_y
      - .offset:         158
        .size:           2
        .value_kind:     hidden_remainder_z
      - .offset:         176
        .size:           8
        .value_kind:     hidden_global_offset_x
      - .offset:         184
        .size:           8
        .value_kind:     hidden_global_offset_y
      - .offset:         192
        .size:           8
        .value_kind:     hidden_global_offset_z
      - .offset:         200
        .size:           2
        .value_kind:     hidden_grid_dims
    .group_segment_fixed_size: 0
    .kernarg_segment_align: 8
    .kernarg_segment_size: 392
    .language:       OpenCL C
    .language_version:
      - 2
      - 0
    .max_flat_workgroup_size: 1024
    .name:           _Z15gpu_chebyshev_2idPKiS0_PKdS2_S2_S2_S2_S2_S2_PdS3_S3_S3_di
    .private_segment_fixed_size: 0
    .sgpr_count:     33
    .sgpr_spill_count: 0
    .symbol:         _Z15gpu_chebyshev_2idPKiS0_PKdS2_S2_S2_S2_S2_S2_PdS3_S3_S3_di.kd
    .uniform_work_group_size: 1
    .uses_dynamic_stack: false
    .vgpr_count:     27
    .vgpr_spill_count: 0
    .wavefront_size: 64
  - .args:
      - .offset:         0
        .size:           4
        .value_kind:     by_value
      - .actual_access:  read_only
        .address_space:  global
        .offset:         8
        .size:           8
        .value_kind:     global_buffer
      - .actual_access:  read_only
        .address_space:  global
        .offset:         16
        .size:           8
        .value_kind:     global_buffer
      - .actual_access:  write_only
        .address_space:  global
        .offset:         24
        .size:           8
        .value_kind:     global_buffer
      - .actual_access:  write_only
        .address_space:  global
        .offset:         32
        .size:           8
        .value_kind:     global_buffer
      - .offset:         40
        .size:           8
        .value_kind:     by_value
      - .offset:         48
        .size:           4
        .value_kind:     hidden_block_count_x
      - .offset:         52
        .size:           4
        .value_kind:     hidden_block_count_y
      - .offset:         56
        .size:           4
        .value_kind:     hidden_block_count_z
      - .offset:         60
        .size:           2
        .value_kind:     hidden_group_size_x
      - .offset:         62
        .size:           2
        .value_kind:     hidden_group_size_y
      - .offset:         64
        .size:           2
        .value_kind:     hidden_group_size_z
      - .offset:         66
        .size:           2
        .value_kind:     hidden_remainder_x
      - .offset:         68
        .size:           2
        .value_kind:     hidden_remainder_y
      - .offset:         70
        .size:           2
        .value_kind:     hidden_remainder_z
      - .offset:         88
        .size:           8
        .value_kind:     hidden_global_offset_x
      - .offset:         96
        .size:           8
        .value_kind:     hidden_global_offset_y
      - .offset:         104
        .size:           8
        .value_kind:     hidden_global_offset_z
      - .offset:         112
        .size:           2
        .value_kind:     hidden_grid_dims
    .group_segment_fixed_size: 0
    .kernarg_segment_align: 8
    .kernarg_segment_size: 304
    .language:       OpenCL C
    .language_version:
      - 2
      - 0
    .max_flat_workgroup_size: 1024
    .name:           _Z16gpu_chebyshev_1xiPKdS0_PdS1_d
    .private_segment_fixed_size: 0
    .sgpr_count:     20
    .sgpr_spill_count: 0
    .symbol:         _Z16gpu_chebyshev_1xiPKdS0_PdS1_d.kd
    .uniform_work_group_size: 1
    .uses_dynamic_stack: false
    .vgpr_count:     9
    .vgpr_spill_count: 0
    .wavefront_size: 64
  - .args:
      - .offset:         0
        .size:           4
        .value_kind:     by_value
      - .offset:         8
        .size:           8
        .value_kind:     by_value
      - .actual_access:  read_only
        .address_space:  global
        .offset:         16
        .size:           8
        .value_kind:     global_buffer
      - .actual_access:  read_only
        .address_space:  global
        .offset:         24
        .size:           8
        .value_kind:     global_buffer
      - .actual_access:  read_only
        .address_space:  global
        .offset:         32
        .size:           8
        .value_kind:     global_buffer
      - .actual_access:  read_only
        .address_space:  global
        .offset:         40
        .size:           8
        .value_kind:     global_buffer
      - .actual_access:  read_only
        .address_space:  global
        .offset:         48
        .size:           8
        .value_kind:     global_buffer
      - .actual_access:  read_only
        .address_space:  global
        .offset:         56
        .size:           8
        .value_kind:     global_buffer
      - .actual_access:  read_only
        .address_space:  global
        .offset:         64
        .size:           8
        .value_kind:     global_buffer
      - .actual_access:  read_only
        .address_space:  global
        .offset:         72
        .size:           8
        .value_kind:     global_buffer
      - .actual_access:  read_only
        .address_space:  global
        .offset:         80
        .size:           8
        .value_kind:     global_buffer
      - .actual_access:  read_only
        .address_space:  global
        .offset:         88
        .size:           8
        .value_kind:     global_buffer
      - .actual_access:  read_only
        .address_space:  global
        .offset:         96
        .size:           8
        .value_kind:     global_buffer
      - .actual_access:  read_only
        .address_space:  global
        .offset:         104
        .size:           8
        .value_kind:     global_buffer
      - .actual_access:  read_only
        .address_space:  global
        .offset:         112
        .size:           8
        .value_kind:     global_buffer
      - .actual_access:  read_only
        .address_space:  global
        .offset:         120
        .size:           8
        .value_kind:     global_buffer
      - .actual_access:  write_only
        .address_space:  global
        .offset:         128
        .size:           8
        .value_kind:     global_buffer
      - .actual_access:  write_only
        .address_space:  global
        .offset:         136
        .size:           8
        .value_kind:     global_buffer
      - .actual_access:  write_only
        .address_space:  global
        .offset:         144
        .size:           8
        .value_kind:     global_buffer
      - .actual_access:  write_only
        .address_space:  global
        .offset:         152
        .size:           8
        .value_kind:     global_buffer
      - .address_space:  global
        .offset:         160
        .size:           8
        .value_kind:     global_buffer
      - .address_space:  global
        .offset:         168
        .size:           8
        .value_kind:     global_buffer
      - .offset:         176
        .size:           8
        .value_kind:     by_value
      - .offset:         184
        .size:           4
        .value_kind:     by_value
      - .offset:         192
        .size:           4
        .value_kind:     hidden_block_count_x
      - .offset:         196
        .size:           4
        .value_kind:     hidden_block_count_y
      - .offset:         200
        .size:           4
        .value_kind:     hidden_block_count_z
      - .offset:         204
        .size:           2
        .value_kind:     hidden_group_size_x
      - .offset:         206
        .size:           2
        .value_kind:     hidden_group_size_y
      - .offset:         208
        .size:           2
        .value_kind:     hidden_group_size_z
      - .offset:         210
        .size:           2
        .value_kind:     hidden_remainder_x
      - .offset:         212
        .size:           2
        .value_kind:     hidden_remainder_y
      - .offset:         214
        .size:           2
        .value_kind:     hidden_remainder_z
      - .offset:         232
        .size:           8
        .value_kind:     hidden_global_offset_x
      - .offset:         240
        .size:           8
        .value_kind:     hidden_global_offset_y
      - .offset:         248
        .size:           8
        .value_kind:     hidden_global_offset_z
      - .offset:         256
        .size:           2
        .value_kind:     hidden_grid_dims
    .group_segment_fixed_size: 0
    .kernarg_segment_align: 8
    .kernarg_segment_size: 448
    .language:       OpenCL C
    .language_version:
      - 2
      - 0
    .max_flat_workgroup_size: 1024
    .name:           _Z16gpu_chebyshev_2xidPKiS0_PKdS2_S2_S2_S2_S2_S2_S2_S2_S2_S2_S2_PdS3_S3_S3_S3_S3_di
    .private_segment_fixed_size: 0
    .sgpr_count:     50
    .sgpr_spill_count: 0
    .symbol:         _Z16gpu_chebyshev_2xidPKiS0_PKdS2_S2_S2_S2_S2_S2_S2_S2_S2_S2_S2_PdS3_S3_S3_S3_S3_di.kd
    .uniform_work_group_size: 1
    .uses_dynamic_stack: false
    .vgpr_count:     37
    .vgpr_spill_count: 0
    .wavefront_size: 64
  - .args:
      - .offset:         0
        .size:           4
        .value_kind:     by_value
      - .offset:         8
        .size:           8
        .value_kind:     by_value
      - .actual_access:  read_only
        .address_space:  global
        .offset:         16
        .size:           8
        .value_kind:     global_buffer
      - .actual_access:  read_only
        .address_space:  global
        .offset:         24
        .size:           8
        .value_kind:     global_buffer
      - .actual_access:  read_only
        .address_space:  global
        .offset:         32
        .size:           8
        .value_kind:     global_buffer
      - .actual_access:  read_only
        .address_space:  global
        .offset:         40
        .size:           8
        .value_kind:     global_buffer
      - .actual_access:  read_only
        .address_space:  global
        .offset:         48
        .size:           8
        .value_kind:     global_buffer
      - .actual_access:  read_only
        .address_space:  global
        .offset:         56
        .size:           8
        .value_kind:     global_buffer
      - .actual_access:  read_only
        .address_space:  global
        .offset:         64
        .size:           8
        .value_kind:     global_buffer
      - .actual_access:  read_only
        .address_space:  global
        .offset:         72
        .size:           8
        .value_kind:     global_buffer
      - .actual_access:  read_only
        .address_space:  global
        .offset:         80
        .size:           8
        .value_kind:     global_buffer
      - .actual_access:  write_only
        .address_space:  global
        .offset:         88
        .size:           8
        .value_kind:     global_buffer
      - .actual_access:  write_only
        .address_space:  global
        .offset:         96
        .size:           8
        .value_kind:     global_buffer
      - .offset:         104
        .size:           4
        .value_kind:     hidden_block_count_x
      - .offset:         108
        .size:           4
        .value_kind:     hidden_block_count_y
      - .offset:         112
        .size:           4
        .value_kind:     hidden_block_count_z
      - .offset:         116
        .size:           2
        .value_kind:     hidden_group_size_x
      - .offset:         118
        .size:           2
        .value_kind:     hidden_group_size_y
      - .offset:         120
        .size:           2
        .value_kind:     hidden_group_size_z
      - .offset:         122
        .size:           2
        .value_kind:     hidden_remainder_x
      - .offset:         124
        .size:           2
        .value_kind:     hidden_remainder_y
      - .offset:         126
        .size:           2
        .value_kind:     hidden_remainder_z
      - .offset:         144
        .size:           8
        .value_kind:     hidden_global_offset_x
      - .offset:         152
        .size:           8
        .value_kind:     hidden_global_offset_y
      - .offset:         160
        .size:           8
        .value_kind:     hidden_global_offset_z
      - .offset:         168
        .size:           2
        .value_kind:     hidden_grid_dims
    .group_segment_fixed_size: 0
    .kernarg_segment_align: 8
    .kernarg_segment_size: 360
    .language:       OpenCL C
    .language_version:
      - 2
      - 0
    .max_flat_workgroup_size: 1024
    .name:           _Z21gpu_kernel_polynomialidPKiS0_PKdS2_S2_S2_S2_S2_S2_PdS3_
    .private_segment_fixed_size: 0
    .sgpr_count:     29
    .sgpr_spill_count: 0
    .symbol:         _Z21gpu_kernel_polynomialidPKiS0_PKdS2_S2_S2_S2_S2_S2_PdS3_.kd
    .uniform_work_group_size: 1
    .uses_dynamic_stack: false
    .vgpr_count:     27
    .vgpr_spill_count: 0
    .wavefront_size: 64
amdhsa.target:   amdgcn-amd-amdhsa--gfx906
amdhsa.version:
  - 1
  - 2
...

	.end_amdgpu_metadata
